;; amdgpu-corpus repo=ROCm/aiter kind=harvested arch=n/a opt=n/a

/root/src/amdgpu-assembly/repos/ROCm__aiter/hsa/gfx950/fmha_v3_bwd/bwd_hd64_bf16_causal_a32_rtz_pssk.co:	file format elf64-amdgpu

Disassembly of section .text:

0000000000004000 <_ZN5aiter48fmha_bwd_hd64_bf16_causal_a32_rtz_pssk_recompileE>:
	s_and_b32 s1, s1, 0xffff                                   // 000000004000: 8601FF01 0000FFFF
	s_load_dwordx2 s[32:33], s[0:1], 0x0                       // 000000004008: C0060800 00000000
	s_load_dwordx2 s[36:37], s[0:1], 0x10                      // 000000004010: C0060900 00000010
	s_load_dwordx2 s[40:41], s[0:1], 0x20                      // 000000004018: C0060A00 00000020
	s_load_dwordx2 s[8:9], s[0:1], 0x30                        // 000000004020: C0060200 00000030
	s_load_dwordx2 s[12:13], s[0:1], 0x40                      // 000000004028: C0060300 00000040
	s_load_dwordx2 s[16:17], s[0:1], 0x50                      // 000000004030: C0060400 00000050
	s_load_dwordx2 s[20:21], s[0:1], 0x60                      // 000000004038: C0060500 00000060
	s_load_dwordx2 s[24:25], s[0:1], 0x70                      // 000000004040: C0060600 00000070
	s_load_dwordx2 s[28:29], s[0:1], 0x80                      // 000000004048: C0060700 00000080
	s_load_dword s47, s[0:1], 0x90                             // 000000004050: C0020BC0 00000090
	s_load_dword s48, s[0:1], 0xa0                             // 000000004058: C0020C00 000000A0
	s_load_dword s49, s[0:1], 0xb0                             // 000000004060: C0020C40 000000B0
	s_load_dword s78, s[0:1], 0xd0                             // 000000004068: C0021380 000000D0
	s_load_dword s79, s[0:1], 0xe0                             // 000000004070: C00213C0 000000E0
	s_load_dword s5, s[0:1], 0xf0                              // 000000004078: C0020140 000000F0
	s_load_dword s44, s[0:1], 0x100                            // 000000004080: C0020B00 00000100
	s_load_dword s80, s[0:1], 0x110                            // 000000004088: C0021400 00000110
	s_load_dword s81, s[0:1], 0x120                            // 000000004090: C0021440 00000120
	s_load_dword s6, s[0:1], 0x130                             // 000000004098: C0020180 00000130
	s_load_dword s52, s[0:1], 0x140                            // 0000000040A0: C0020D00 00000140
	s_load_dword s50, s[0:1], 0x150                            // 0000000040A8: C0020C80 00000150
	s_load_dword s100, s[0:1], 0x180                           // 0000000040B0: C0021900 00000180
	s_load_dword s90, s[0:1], 0x190                            // 0000000040B8: C0021680 00000190
	s_load_dword s91, s[0:1], 0x1a0                            // 0000000040C0: C00216C0 000001A0
	s_load_dword s7, s[0:1], 0x1b0                             // 0000000040C8: C00201C0 000001B0
	s_load_dword s92, s[0:1], 0x1c0                            // 0000000040D0: C0021700 000001C0
	s_load_dword s93, s[0:1], 0x1d0                            // 0000000040D8: C0021740 000001D0
	s_load_dword s51, s[0:1], 0x1e0                            // 0000000040E0: C0020CC0 000001E0
	s_load_dword s94, s[0:1], 0x1f0                            // 0000000040E8: C0021780 000001F0
	s_load_dword s95, s[0:1], 0x200                            // 0000000040F0: C00217C0 00000200
	s_load_dword s96, s[0:1], 0x210                            // 0000000040F8: C0021800 00000210
	s_load_dword s97, s[0:1], 0x220                            // 000000004100: C0021840 00000220
	s_load_dword s53, s[0:1], 0x230                            // 000000004108: C0020D40 00000230
	v_lshrrev_b32_e32 v1, 10, v0                               // 000000004110: 2002008A
	v_lshrrev_b32_e32 v2, 10, v1                               // 000000004114: 2004028A
	v_and_b32_e32 v2, 0x3ff, v2                                // 000000004118: 260404FF 000003FF
	v_and_b32_e32 v1, 0x3ff, v1                                // 000000004120: 260202FF 000003FF
	v_and_b32_e32 v0, 0x3ff, v0                                // 000000004128: 260000FF 000003FF
	v_lshrrev_b32_e32 v3, 6, v0                                // 000000004130: 20060086
	v_and_b32_e32 v0, 63, v0                                   // 000000004134: 260000BF
	s_mov_b32 s2, s2                                           // 000000004138: BE820002
	s_mov_b32 s3, s3                                           // 00000000413C: BE830003
	s_mov_b32 s4, s4                                           // 000000004140: BE840004
	v_readfirstlane_b32 s46, v3                                // 000000004144: 7E5C0503
	s_waitcnt lgkmcnt(0)                                       // 000000004148: BF8CC07F
	s_mov_b32 s11, 0x20000                                     // 00000000414C: BE8B00FF 00020000
	s_mov_b32 s15, 0x20000                                     // 000000004154: BE8F00FF 00020000
	s_mov_b32 s19, 0x20000                                     // 00000000415C: BE9300FF 00020000
	s_mov_b32 s23, 0x20000                                     // 000000004164: BE9700FF 00020000
	s_mov_b32 s27, 0x20000                                     // 00000000416C: BE9B00FF 00020000
	s_mov_b32 s31, 0x20000                                     // 000000004174: BE9F00FF 00020000
	s_mov_b32 s35, 0x20000                                     // 00000000417C: BEA300FF 00020000
	s_mov_b32 s39, 0x20000                                     // 000000004184: BEA700FF 00020000
	s_mov_b32 s43, 0x20000                                     // 00000000418C: BEAB00FF 00020000
	s_and_b32 s9, s9, 0xffff                                   // 000000004194: 8609FF09 0000FFFF
	s_and_b32 s13, s13, 0xffff                                 // 00000000419C: 860DFF0D 0000FFFF
	s_and_b32 s17, s17, 0xffff                                 // 0000000041A4: 8611FF11 0000FFFF
	s_and_b32 s21, s21, 0xffff                                 // 0000000041AC: 8615FF15 0000FFFF
	s_and_b32 s25, s25, 0xffff                                 // 0000000041B4: 8619FF19 0000FFFF
	s_and_b32 s29, s29, 0xffff                                 // 0000000041BC: 861DFF1D 0000FFFF
	s_and_b32 s33, s33, 0xffff                                 // 0000000041C4: 8621FF21 0000FFFF
	s_and_b32 s37, s37, 0xffff                                 // 0000000041CC: 8625FF25 0000FFFF
	s_and_b32 s41, s41, 0xffff                                 // 0000000041D4: 8629FF29 0000FFFF
	s_or_b32 s9, s9, 0x40000                                   // 0000000041DC: 8709FF09 00040000
	s_or_b32 s13, s13, 0x40000                                 // 0000000041E4: 870DFF0D 00040000
	s_or_b32 s17, s17, 0x40000                                 // 0000000041EC: 8711FF11 00040000
	s_or_b32 s21, s21, 0x40000                                 // 0000000041F4: 8715FF15 00040000
	s_or_b32 s25, s25, 0x40000                                 // 0000000041FC: 8719FF19 00040000
	s_or_b32 s29, s29, 0x40000                                 // 000000004204: 871DFF1D 00040000
	s_or_b32 s33, s33, 0x40000                                 // 00000000420C: 8721FF21 00040000
	s_or_b32 s37, s37, 0x40000                                 // 000000004214: 8725FF25 00040000
	s_or_b32 s41, s41, 0x40000                                 // 00000000421C: 8729FF29 00040000
	v_accvgpr_write_b32 a159, 0                                // 000000004224: D3D9409F 18000080
	v_mov_b32_e32 v235, 0                                      // 00000000422C: 7FD60280
	s_mov_b32 s71, s3                                          // 000000004230: BEC70003
	v_cvt_f32_u32_e32 v32, s44                                 // 000000004234: 7E400C2C
	s_sub_i32 s60, 0, s44                                      // 000000004238: 81BC2C80
	v_rcp_iflag_f32_e32 v32, v32                               // 00000000423C: 7E404720
	s_nop 0                                                    // 000000004240: BF800000
	v_mul_f32_e32 v32, 0x4f7ffffe, v32                         // 000000004244: 0A4040FF 4F7FFFFE
	v_cvt_u32_f32_e32 v32, v32                                 // 00000000424C: 7E400F20
	v_mul_lo_u32 v33, s60, v32                                 // 000000004250: D2850021 0002403C
	v_mul_hi_u32 v33, v32, v33                                 // 000000004258: D2860021 00024320
	v_add_u32_e32 v32, v32, v33                                // 000000004260: 68404320
	v_mul_hi_u32 v32, s71, v32                                 // 000000004264: D2860020 00024047
	v_mul_lo_u32 v33, v32, s44                                 // 00000000426C: D2850021 00005920
	v_sub_u32_e32 v35, s71, v33                                // 000000004274: 6A464247
	v_add_u32_e32 v34, 1, v32                                  // 000000004278: 68444081
	v_cmp_le_u32_e32 vcc, s44, v35                             // 00000000427C: 7D96462C
	v_subrev_u32_e32 v33, s44, v35                             // 000000004280: 6C42462C
	s_nop 0                                                    // 000000004284: BF800000
	v_cndmask_b32_e32 v32, v32, v34, vcc                       // 000000004288: 00404520
	v_cndmask_b32_e32 v35, v35, v33, vcc                       // 00000000428C: 00464323
	v_add_u32_e32 v33, 1, v32                                  // 000000004290: 68424081
	v_cmp_le_u32_e32 vcc, s44, v35                             // 000000004294: 7D96462C
	s_nop 1                                                    // 000000004298: BF800001
	v_cndmask_b32_e32 v35, v32, v33, vcc                       // 00000000429C: 00464320
	s_nop 3                                                    // 0000000042A0: BF800003
	v_readfirstlane_b32 s45, v35                               // 0000000042A4: 7E5A0523
	s_nop 3                                                    // 0000000042A8: BF800003
	s_mul_i32 s61, s45, s80                                    // 0000000042AC: 923D502D
	s_mov_b32 s54, s61                                         // 0000000042B0: BEB6003D
	s_add_u32 s12, s54, s12                                    // 0000000042B4: 800C0C36
	s_addc_u32 s13, 0, s13                                     // 0000000042B8: 820D0D80
	s_mul_i32 s60, s4, s81                                     // 0000000042BC: 923C5104
	s_mul_hi_u32 s61, s4, s81                                  // 0000000042C0: 963D5104
	s_and_b32 s61, s61, 0xffff                                 // 0000000042C4: 863DFF3D 0000FFFF
	s_add_u32 s12, s12, s60                                    // 0000000042CC: 800C3C0C
	s_addc_u32 s13, s13, s61                                   // 0000000042D0: 820D3D0D
	s_mul_i32 s61, s45, s90                                    // 0000000042D4: 923D5A2D
	s_mov_b32 s54, s61                                         // 0000000042D8: BEB6003D
	s_add_u32 s16, s54, s16                                    // 0000000042DC: 80101036
	s_addc_u32 s17, 0, s17                                     // 0000000042E0: 82111180
	s_mul_i32 s60, s4, s91                                     // 0000000042E4: 923C5B04
	s_mul_hi_u32 s61, s4, s91                                  // 0000000042E8: 963D5B04
	s_and_b32 s61, s61, 0xffff                                 // 0000000042EC: 863DFF3D 0000FFFF
	s_add_u32 s16, s16, s60                                    // 0000000042F4: 80103C10
	s_addc_u32 s17, s17, s61                                   // 0000000042F8: 82113D11
	s_mul_i32 s61, s3, s78                                     // 0000000042FC: 923D4E03
	s_mov_b32 s55, s61                                         // 000000004300: BEB7003D
	s_add_u32 s8, s55, s8                                      // 000000004304: 80080837
	s_addc_u32 s9, 0, s9                                       // 000000004308: 82090980
	s_mul_i32 s60, s4, s79                                     // 00000000430C: 923C4F04
	s_mul_hi_u32 s61, s4, s79                                  // 000000004310: 963D4F04
	s_and_b32 s61, s61, 0xffff                                 // 000000004314: 863DFF3D 0000FFFF
	s_add_u32 s8, s8, s60                                      // 00000000431C: 80083C08
	s_addc_u32 s9, s9, s61                                     // 000000004320: 82093D09
	s_mul_i32 s61, s3, s92                                     // 000000004324: 923D5C03
	s_mov_b32 s56, s61                                         // 000000004328: BEB8003D
	s_add_u32 s20, s56, s20                                    // 00000000432C: 80141438
	s_addc_u32 s21, 0, s21                                     // 000000004330: 82151580
	s_mul_i32 s60, s4, s93                                     // 000000004334: 923C5D04
	s_mul_hi_u32 s61, s4, s93                                  // 000000004338: 963D5D04
	s_and_b32 s61, s61, 0xffff                                 // 00000000433C: 863DFF3D 0000FFFF
	s_add_u32 s20, s20, s60                                    // 000000004344: 80143C14
	s_addc_u32 s21, s21, s61                                   // 000000004348: 82153D15
	s_mul_i32 s62, s4, s100                                    // 00000000434C: 923E6404
	s_mul_i32 s62, s62, s49                                    // 000000004350: 923E313E
	s_lshl_b32 s62, s62, 2                                     // 000000004354: 8E3E823E
	s_mul_i32 s61, s3, s49                                     // 000000004358: 923D3103
	s_mul_i32 s61, 4, s61                                      // 00000000435C: 923D3D84
	s_add_u32 s65, s61, s62                                    // 000000004360: 80413E3D
	s_mov_b32 s26, s49                                         // 000000004364: BE9A0031
	s_mov_b32 s30, s49                                         // 000000004368: BE9E0031
	s_add_u32 s24, s65, s24                                    // 00000000436C: 80181841
	s_addc_u32 s25, 0, s25                                     // 000000004370: 82191980
	s_add_u32 s28, s65, s28                                    // 000000004374: 801C1C41
	s_addc_u32 s29, 0, s29                                     // 000000004378: 821D1D80
	s_mul_i32 s61, s3, s94                                     // 00000000437C: 923D5E03
	s_mul_i32 s62, s4, s95                                     // 000000004380: 923E5F04
	s_add_u32 s60, s61, s62                                    // 000000004384: 803C3E3D
	s_mul_hi_u32 s61, s4, s95                                  // 000000004388: 963D5F04
	s_and_b32 s61, s61, 0xffff                                 // 00000000438C: 863DFF3D 0000FFFF
	s_add_u32 s36, s60, s36                                    // 000000004394: 8024243C
	s_addc_u32 s37, s61, s37                                   // 000000004398: 8225253D
	s_mul_i32 s60, s50, s52                                    // 00000000439C: 923C3432
	s_lshr_b32 s60, s60, 2                                     // 0000000043A0: 8F3C823C
	s_mov_b32 s38, s60                                         // 0000000043A4: BEA6003C
	s_mul_i32 s61, s3, s96                                     // 0000000043A8: 923D6003
	s_mul_i32 s62, s4, s97                                     // 0000000043AC: 923E6104
	s_add_u32 s60, s61, s62                                    // 0000000043B0: 803C3E3D
	s_mul_hi_u32 s61, s4, s97                                  // 0000000043B4: 963D6104
	s_and_b32 s61, s61, 0xffff                                 // 0000000043B8: 863DFF3D 0000FFFF
	s_add_u32 s40, s60, s40                                    // 0000000043C0: 8028283C
	s_addc_u32 s41, s61, s41                                   // 0000000043C4: 8229293D
	s_mul_i32 s60, s50, s53                                    // 0000000043C8: 923C3532
	s_lshr_b32 s60, s60, 2                                     // 0000000043CC: 8F3C823C
	s_mov_b32 s42, s60                                         // 0000000043D0: BEAA003C
	s_mul_i32 s60, 64, s65                                     // 0000000043D4: 923C41C0
	s_mul_hi_u32 s61, 64, s65                                  // 0000000043D8: 963D41C0
	s_and_b32 s61, s61, 0xffff                                 // 0000000043DC: 863DFF3D 0000FFFF
	s_add_u32 s32, s60, s32                                    // 0000000043E4: 8020203C
	s_addc_u32 s33, s61, s33                                   // 0000000043E8: 8221213D
	s_mul_i32 s60, 64, s49                                     // 0000000043EC: 923C31C0
	s_mov_b32 s34, s60                                         // 0000000043F0: BEA2003C
	s_mov_b32 s82, s8                                          // 0000000043F4: BED20008
	s_mov_b32 s84, s12                                         // 0000000043F8: BED4000C
	s_mov_b32 s86, s16                                         // 0000000043FC: BED60010
	s_mov_b32 s88, s20                                         // 000000004400: BED80014
	s_mov_b32 s83, s9                                          // 000000004404: BED30009
	s_mov_b32 s85, s13                                         // 000000004408: BED5000D
	s_mov_b32 s87, s17                                         // 00000000440C: BED70011
	s_mov_b32 s89, s21                                         // 000000004410: BED90015
	s_add_u32 s71, 0xbf, s50                                   // 000000004414: 804732FF 000000BF
	s_mov_b32 s74, 0xc0                                        // 00000000441C: BECA00FF 000000C0
	v_cvt_f32_u32_e32 v32, s74                                 // 000000004424: 7E400C4A
	s_sub_i32 s60, 0, s74                                      // 000000004428: 81BC4A80
	v_rcp_iflag_f32_e32 v32, v32                               // 00000000442C: 7E404720
	s_nop 0                                                    // 000000004430: BF800000
	v_mul_f32_e32 v32, 0x4f7ffffe, v32                         // 000000004434: 0A4040FF 4F7FFFFE
	v_cvt_u32_f32_e32 v32, v32                                 // 00000000443C: 7E400F20
	v_mul_lo_u32 v33, s60, v32                                 // 000000004440: D2850021 0002403C
	v_mul_hi_u32 v33, v32, v33                                 // 000000004448: D2860021 00024320
	v_add_u32_e32 v32, v32, v33                                // 000000004450: 68404320
	v_mul_hi_u32 v32, s71, v32                                 // 000000004454: D2860020 00024047
	v_mul_lo_u32 v33, v32, s74                                 // 00000000445C: D2850021 00009520
	v_sub_u32_e32 v35, s71, v33                                // 000000004464: 6A464247
	v_add_u32_e32 v34, 1, v32                                  // 000000004468: 68444081
	v_cmp_le_u32_e32 vcc, s74, v35                             // 00000000446C: 7D96464A
	v_subrev_u32_e32 v33, s74, v35                             // 000000004470: 6C42464A
	s_nop 0                                                    // 000000004474: BF800000
	v_cndmask_b32_e32 v32, v32, v34, vcc                       // 000000004478: 00404520
	v_cndmask_b32_e32 v35, v35, v33, vcc                       // 00000000447C: 00464323
	v_add_u32_e32 v33, 1, v32                                  // 000000004480: 68424081
	v_cmp_le_u32_e32 vcc, s74, v35                             // 000000004484: 7D96464A
	s_nop 1                                                    // 000000004488: BF800001
	v_cndmask_b32_e32 v35, v32, v33, vcc                       // 00000000448C: 00464320
	s_nop 3                                                    // 000000004490: BF800003
	v_readfirstlane_b32 s77, v35                               // 000000004494: 7E9A0523
	s_nop 3                                                    // 000000004498: BF800003
	v_mov_b32_e32 v32, s47                                     // 00000000449C: 7E40022F
	v_mul_f32_e32 v32, s48, v32                                // 0000000044A0: 0A404030
	s_mov_b32 s58, s49                                         // 0000000044A4: BEBA0031
	s_mov_b32 s59, 0                                           // 0000000044A8: BEBB0080
	s_mov_b32 s63, 0x5040100                                   // 0000000044AC: BEBF00FF 05040100
	s_mov_b32 s64, 0x7060302                                   // 0000000044B4: BEC000FF 07060302
	v_readfirstlane_b32 s57, v32                               // 0000000044BC: 7E720520
	v_mov_b32_e32 v34, 0x3020706                               // 0000000044C0: 7E4402FF 03020706
	v_mov_b32_e32 v32, s63                                     // 0000000044C8: 7E40023F
	v_and_b32_e32 v33, 1, v0                                   // 0000000044CC: 26420081
	v_cmp_eq_u32_e32 vcc, 1, v33                               // 0000000044D0: 7D944281
	s_mov_b32 s67, 0x800                                       // 0000000044D4: BEC300FF 00000800
	s_nop 0                                                    // 0000000044DC: BF800000
	v_cndmask_b32_e32 v17, v32, v34, vcc                       // 0000000044E0: 00224520
	v_mov_b32_e32 v229, 0xffff0000                             // 0000000044E4: 7FCA02FF FFFF0000
	v_mov_b32_e32 v230, 0x7fff0000                             // 0000000044EC: 7FCC02FF 7FFF0000
	v_mov_b32_e32 v231, 0x7fff                                 // 0000000044F4: 7FCE02FF 00007FFF
	s_cmp_lt_u32 s46, 2                                        // 0000000044FC: BF0A822E
	s_cselect_b32 s24, s24, s28                                // 000000004500: 85181C18
	s_cselect_b32 s25, s25, s29                                // 000000004504: 85191D19
	s_cselect_b32 s26, s26, s30                                // 000000004508: 851A1E1A
	s_cselect_b32 s27, s27, s31                                // 00000000450C: 851B1F1B
	s_lshr_b32 s60, s46, 1                                     // 000000004510: 8F3C812E
	s_lshl_b32 s60, s60, 8                                     // 000000004514: 8E3C883C
	s_add_u32 s80, 0x9a00, s60                                 // 000000004518: 80503CFF 00009A00
	s_add_u32 s81, 0x200, s80                                  // 000000004520: 805150FF 00000200
	s_mov_b32 m0, s80                                          // 000000004528: BEFC0050
	s_mov_b32 s75, 0                                           // 00000000452C: BECB0080
	s_mov_b32 s76, 1                                           // 000000004530: BECC0081
	s_lshl_b32 s60, s2, 1                                      // 000000004534: 8E3C8102
	s_add_u32 s60, 1, s60                                      // 000000004538: 803C3C81
	s_cmp_ge_i32 s60, s77                                      // 00000000453C: BF034D3C
	s_cselect_b32 s76, s76, 2                                  // 000000004540: 854C824C

0000000000004544 <label_0151>:
	s_mov_b32 m0, s80                                          // 000000004544: BEFC0050
	s_mov_b32 s66, 0                                           // 000000004548: BEC20080
	v_mov_b32_e32 v178, 0xff800000                             // 00000000454C: 7F6402FF FF800000
	s_mov_b32 s74, 0                                           // 000000004554: BECA0080
	s_mul_i32 s68, 8, s5                                       // 000000004558: 92440588
	s_mul_i32 s99, 8, s51                                      // 00000000455C: 92633388
	s_mov_b32 s69, 32                                          // 000000004560: BEC500A0
	s_mul_i32 s59, 0xc0, s2                                    // 000000004564: 923B02FF 000000C0
	s_mul_i32 s54, s6, s59                                     // 00000000456C: 92363B06
	s_sub_i32 s61, s50, s59                                    // 000000004570: 81BD3B32
	s_mul_i32 s62, s6, s61                                     // 000000004574: 923E3D06
	s_lshr_b32 s62, s62, 2                                     // 000000004578: 8F3E823E
	s_mov_b32 s14, s62                                         // 00000000457C: BE8E003E
	s_add_u32 s12, s54, s84                                    // 000000004580: 800C5436
	s_addc_u32 s13, 0, s85                                     // 000000004584: 820D5580
	s_mul_i32 s54, s7, s59                                     // 000000004588: 92363B07
	s_mul_i32 s62, s7, s61                                     // 00000000458C: 923E3D07
	s_lshr_b32 s62, s62, 2                                     // 000000004590: 8F3E823E
	s_mov_b32 s18, s62                                         // 000000004594: BE92003E
	s_add_u32 s16, s54, s86                                    // 000000004598: 80105636
	s_addc_u32 s17, 0, s87                                     // 00000000459C: 82115780
	s_mov_b32 s71, s6                                          // 0000000045A0: BEC70006
	v_lshrrev_b32_e32 v32, 4, v0                               // 0000000045A4: 20400084
	v_and_b32_e32 v33, 1, v32                                  // 0000000045A8: 26424081
	v_lshlrev_b32_e32 v33, 1, v33                              // 0000000045AC: 24424281
	v_mul_i32_i24_e32 v33, s71, v33                            // 0000000045B0: 0C424247
	v_and_b32_e32 v34, 2, v32                                  // 0000000045B4: 26444082
	v_lshlrev_b32_e32 v34, 5, v34                              // 0000000045B8: 24444485
	v_add_u32_e32 v33, v34, v33                                // 0000000045BC: 68424322
	v_and_b32_e32 v32, 15, v0                                  // 0000000045C0: 2640008F
	v_lshlrev_b32_e32 v32, 2, v32                              // 0000000045C4: 24404082
	v_add_u32_e32 v1, v32, v33                                 // 0000000045C8: 68024320
	s_mul_i32 s60, s46, s71                                    // 0000000045CC: 923C472E
	s_mul_i32 s60, s60, 4                                      // 0000000045D0: 923C843C
	v_add_u32_e32 v1, s60, v1                                  // 0000000045D4: 6802023C
	v_add_u32_e32 v2, s71, v1                                  // 0000000045D8: 68040247
	s_mul_i32 s60, 16, s71                                     // 0000000045DC: 923C4790
	v_add_u32_e32 v3, s60, v1                                  // 0000000045E0: 6806023C
	v_add_u32_e32 v4, s60, v2                                  // 0000000045E4: 6808043C
	s_mov_b32 s71, s7                                          // 0000000045E8: BEC70007
	v_lshrrev_b32_e32 v32, 4, v0                               // 0000000045EC: 20400084
	v_and_b32_e32 v33, 1, v32                                  // 0000000045F0: 26424081
	v_lshlrev_b32_e32 v33, 1, v33                              // 0000000045F4: 24424281
	v_mul_i32_i24_e32 v33, s71, v33                            // 0000000045F8: 0C424247
	v_and_b32_e32 v34, 2, v32                                  // 0000000045FC: 26444082
	v_lshlrev_b32_e32 v34, 5, v34                              // 000000004600: 24444485
	v_add_u32_e32 v33, v34, v33                                // 000000004604: 68424322
	v_and_b32_e32 v32, 15, v0                                  // 000000004608: 2640008F
	v_lshlrev_b32_e32 v32, 2, v32                              // 00000000460C: 24404082
	v_add_u32_e32 v232, v32, v33                               // 000000004610: 69D04320
	s_mul_i32 s60, s46, s71                                    // 000000004614: 923C472E
	s_mul_i32 s60, s60, 4                                      // 000000004618: 923C843C
	v_add_u32_e32 v232, s60, v232                              // 00000000461C: 69D1D03C
	v_add_u32_e32 v233, s71, v232                              // 000000004620: 69D3D047
	s_mul_i32 s60, 16, s71                                     // 000000004624: 923C4790
	v_add_u32_e32 v234, s60, v232                              // 000000004628: 69D5D03C
	v_add_u32_e32 v235, s60, v233                              // 00000000462C: 69D7D23C
	v_lshrrev_b32_e32 v1, 2, v1                                // 000000004630: 20020282
	v_lshrrev_b32_e32 v2, 2, v2                                // 000000004634: 20040482
	v_lshrrev_b32_e32 v232, 2, v232                            // 000000004638: 21D1D082
	v_lshrrev_b32_e32 v233, 2, v233                            // 00000000463C: 21D3D282
	s_mov_b32 s70, s52                                         // 000000004640: BEC60034
	v_lshrrev_b32_e32 v32, 3, v0                               // 000000004644: 20400083
	v_mul_i32_i24_e32 v5, s70, v32                             // 000000004648: 0C0A4046
	v_lshrrev_b32_e32 v5, 2, v5                                // 00000000464C: 200A0A82
	v_and_b32_e32 v32, 7, v0                                   // 000000004650: 26400087
	v_lshlrev_b32_e32 v33, 2, v32                              // 000000004654: 24424082
	v_add_u32_e32 v5, v33, v5                                  // 000000004658: 680A0B21
	s_mul_i32 s60, 16, s70                                     // 00000000465C: 923C4690
	s_mul_i32 s60, s46, s60                                    // 000000004660: 923C3C2E
	v_lshlrev_b32_e32 v5, 2, v5                                // 000000004664: 240A0A82
	v_add_u32_e32 v5, s60, v5                                  // 000000004668: 680A0A3C
	s_mul_i32 s60, s52, s59                                    // 00000000466C: 923C3B34
	v_add_u32_e32 v5, s60, v5                                  // 000000004670: 680A0A3C
	v_lshrrev_b32_e32 v5, 2, v5                                // 000000004674: 200A0A82
	s_mov_b32 s70, s53                                         // 000000004678: BEC60035
	v_lshrrev_b32_e32 v32, 3, v0                               // 00000000467C: 20400083
	v_mul_i32_i24_e32 v10, s70, v32                            // 000000004680: 0C144046
	v_lshrrev_b32_e32 v10, 2, v10                              // 000000004684: 20141482
	v_and_b32_e32 v32, 7, v0                                   // 000000004688: 26400087
	v_lshlrev_b32_e32 v33, 2, v32                              // 00000000468C: 24424082
	v_add_u32_e32 v10, v33, v10                                // 000000004690: 68141521
	s_mul_i32 s60, 16, s70                                     // 000000004694: 923C4690
	s_mul_i32 s60, s46, s60                                    // 000000004698: 923C3C2E
	v_lshlrev_b32_e32 v10, 2, v10                              // 00000000469C: 24141482
	v_add_u32_e32 v10, s60, v10                                // 0000000046A0: 6814143C
	s_mul_i32 s60, s53, s59                                    // 0000000046A4: 923C3B35
	v_add_u32_e32 v10, s60, v10                                // 0000000046A8: 6814143C
	v_lshrrev_b32_e32 v10, 2, v10                              // 0000000046AC: 20141482
	s_cmp_ge_i32 s59, s49                                      // 0000000046B0: BF03313B
	s_cselect_b32 s59, s49, s59                                // 0000000046B4: 853B3B31
	s_add_u32 s73, 32, s59                                     // 0000000046B8: 80493BA0
	s_mul_i32 s55, s5, s59                                     // 0000000046BC: 92373B05
	s_sub_i32 s61, s49, s59                                    // 0000000046C0: 81BD3B31
	s_mul_i32 s62, s5, s61                                     // 0000000046C4: 923E3D05
	s_lshr_b32 s62, s62, 2                                     // 0000000046C8: 8F3E823E
	s_mov_b32 s10, s62                                         // 0000000046CC: BE8A003E
	s_add_u32 s8, s55, s82                                     // 0000000046D0: 80085237
	s_addc_u32 s9, 0, s83                                      // 0000000046D4: 82095380
	s_mul_i32 s56, s51, s59                                    // 0000000046D8: 92383B33
	s_mul_i32 s62, s51, s61                                    // 0000000046DC: 923E3D33
	s_lshr_b32 s62, s62, 2                                     // 0000000046E0: 8F3E823E
	s_mov_b32 s22, s62                                         // 0000000046E4: BE96003E
	s_add_u32 s20, s56, s88                                    // 0000000046E8: 80145838
	s_addc_u32 s21, 0, s89                                     // 0000000046EC: 82155980
	s_mul_i32 s65, s59, 4                                      // 0000000046F0: 9241843B
	v_and_b32_e32 v11, 31, v0                                  // 0000000046F4: 2616009F
	v_lshlrev_b32_e32 v11, 2, v11                              // 0000000046F8: 24161682
	v_add_u32_e32 v11, s65, v11                                // 0000000046FC: 68161641
	v_lshrrev_b32_e32 v11, 2, v11                              // 000000004700: 20161682
	v_lshrrev_b32_e32 v32, 5, v0                               // 000000004704: 20400085
	v_mul_i32_i24_e32 v6, 0x80, v32                            // 000000004708: 0C0C40FF 00000080
	v_and_b32_e32 v32, 31, v0                                  // 000000004710: 2640009F
	v_add_u32_e32 v6, v32, v6                                  // 000000004714: 680C0D20
	s_mul_i32 s60, s46, 0x100                                  // 000000004718: 923CFF2E 00000100
	v_add_u32_e32 v6, s60, v6                                  // 000000004720: 680C0C3C
	v_lshlrev_b32_e32 v6, 2, v6                                // 000000004724: 240C0C82
	v_add_u32_e32 v7, 0x100, v6                                // 000000004728: 680E0CFF 00000100
	v_add_u32_e32 v8, 0x1000, v6                               // 000000004730: 68100CFF 00001000
	v_add_u32_e32 v9, 0x1000, v7                               // 000000004738: 68120EFF 00001000
	s_mul_i32 s60, 64, s65                                     // 000000004740: 923C41C0
	v_add_u32_e32 v6, s60, v6                                  // 000000004744: 680C0C3C
	v_lshrrev_b32_e32 v6, 2, v6                                // 000000004748: 200C0C82
	v_add_u32_e32 v7, s60, v7                                  // 00000000474C: 680E0E3C
	v_lshrrev_b32_e32 v7, 2, v7                                // 000000004750: 200E0E82
	v_add_u32_e32 v8, s60, v8                                  // 000000004754: 6810103C
	v_lshrrev_b32_e32 v8, 2, v8                                // 000000004758: 20101082
	v_add_u32_e32 v9, s60, v9                                  // 00000000475C: 6812123C
	v_lshrrev_b32_e32 v9, 2, v9                                // 000000004760: 20121282
	s_mul_i32 s60, 3, s2                                       // 000000004764: 923C0283
	s_add_u32 s61, s50, 63                                     // 000000004768: 803DBF32
	s_lshr_b32 s61, s61, 6                                     // 00000000476C: 8F3D863D
	s_sub_i32 s72, s61, s60                                    // 000000004770: 81C83C3D
	s_cmp_lt_i32 s72, 3                                        // 000000004774: BF048348
	s_cselect_b32 s72, s72, 3                                  // 000000004778: 85488348
	s_mul_i32 s60, 0xc0, s2                                    // 00000000477C: 923C02FF 000000C0
	s_sub_i32 s101, s50, s60                                   // 000000004784: 81E53C32
	v_and_b32_e32 v32, 31, v0                                  // 000000004788: 2640009F
	v_lshrrev_b32_e32 v32, 1, v32                              // 00000000478C: 20404081
	v_and_b32_e32 v33, 1, v32                                  // 000000004790: 26424081
	v_lshlrev_b32_e32 v33, 4, v33                              // 000000004794: 24424284
	v_and_b32_e32 v34, 2, v32                                  // 000000004798: 26444082
	v_lshlrev_b32_e32 v34, 2, v34                              // 00000000479C: 24444482
	v_add_u32_e32 v33, v34, v33                                // 0000000047A0: 68424322
	v_and_b32_e32 v34, 12, v32                                 // 0000000047A4: 2644408C
	v_lshrrev_b32_e32 v34, 1, v34                              // 0000000047A8: 20444481
	v_add_u32_e32 v33, v34, v33                                // 0000000047AC: 68424322
	v_lshrrev_b32_e32 v32, 5, v0                               // 0000000047B0: 20400085
	v_mul_i32_i24_e32 v34, 0x80, v32                           // 0000000047B4: 0C4440FF 00000080
	v_add_u32_e32 v33, v34, v33                                // 0000000047BC: 68424322
	v_and_b32_e32 v34, 1, v0                                   // 0000000047C0: 26440081
	v_add_u32_e32 v13, v34, v33                                // 0000000047C4: 681A4322
	s_mul_i32 s60, s46, 32                                     // 0000000047C8: 923CA02E
	v_add_u32_e32 v13, s60, v13                                // 0000000047CC: 681A1A3C
	v_lshlrev_b32_e32 v13, 2, v13                              // 0000000047D0: 241A1A82
	v_lshrrev_b32_e32 v32, 4, v0                               // 0000000047D4: 20400084
	v_and_b32_e32 v33, 1, v32                                  // 0000000047D8: 26424081
	v_lshlrev_b32_e32 v33, 4, v33                              // 0000000047DC: 24424284
	v_and_b32_e32 v34, 2, v32                                  // 0000000047E0: 26444082
	v_mul_i32_i24_e32 v34, 4, v34                              // 0000000047E4: 0C444484
	v_add_u32_e32 v33, v34, v33                                // 0000000047E8: 68424322
	v_and_b32_e32 v32, 15, v0                                  // 0000000047EC: 2640008F
	v_lshrrev_b32_e32 v34, 2, v32                              // 0000000047F0: 20444082
	v_lshlrev_b32_e32 v34, 5, v34                              // 0000000047F4: 24444485
	v_add_u32_e32 v33, v34, v33                                // 0000000047F8: 68424322
	v_and_b32_e32 v32, 3, v0                                   // 0000000047FC: 26400083
	v_and_b32_e32 v34, 1, v32                                  // 000000004800: 26444081
	v_mul_i32_i24_e32 v34, 0x108, v34                          // 000000004804: 0C4444FF 00000108
	v_add_u32_e32 v33, v34, v33                                // 00000000480C: 68424322
	v_and_b32_e32 v34, 2, v32                                  // 000000004810: 26444082
	v_lshlrev_b32_e32 v34, 1, v34                              // 000000004814: 24444481
	v_add_u32_e32 v12, v34, v33                                // 000000004818: 68184322
	v_lshlrev_b32_e32 v12, 2, v12                              // 00000000481C: 24181882
	s_mul_i32 s60, s46, 0x880                                  // 000000004820: 923CFF2E 00000880
	v_add_u32_e32 v24, s60, v12                                // 000000004828: 6830183C
	v_lshrrev_b32_e32 v32, 5, v0                               // 00000000482C: 20400085
	v_mul_i32_i24_e32 v15, 0x80, v32                           // 000000004830: 0C1E40FF 00000080
	v_and_b32_e32 v32, 31, v0                                  // 000000004838: 2640009F
	v_and_b32_e32 v33, 7, v32                                  // 00000000483C: 26424087
	v_and_b32_e32 v34, 1, v33                                  // 000000004840: 26444281
	v_lshlrev_b32_e32 v34, 2, v34                              // 000000004844: 24444482
	v_add_u32_e32 v15, v34, v15                                // 000000004848: 681E1F22
	v_and_b32_e32 v34, 2, v33                                  // 00000000484C: 26444282
	v_lshlrev_b32_e32 v34, 3, v34                              // 000000004850: 24444483
	v_add_u32_e32 v15, v34, v15                                // 000000004854: 681E1F22
	v_and_b32_e32 v34, 4, v33                                  // 000000004858: 26444284
	v_lshlrev_b32_e32 v34, 1, v34                              // 00000000485C: 24444481
	v_add_u32_e32 v15, v34, v15                                // 000000004860: 681E1F22
	v_lshrrev_b32_e32 v33, 3, v32                              // 000000004864: 20424083
	v_and_b32_e32 v34, 1, v33                                  // 000000004868: 26444281
	v_lshlrev_b32_e32 v34, 1, v34                              // 00000000486C: 24444481
	v_add_u32_e32 v15, v34, v15                                // 000000004870: 681E1F22
	v_and_b32_e32 v34, 2, v33                                  // 000000004874: 26444282
	v_lshrrev_b32_e32 v34, 1, v34                              // 000000004878: 20444481
	v_add_u32_e32 v15, v34, v15                                // 00000000487C: 681E1F22
	s_mul_i32 s60, s46, 32                                     // 000000004880: 923CA02E
	v_add_u32_e32 v15, s60, v15                                // 000000004884: 681E1E3C
	v_lshlrev_b32_e32 v15, 2, v15                              // 000000004888: 241E1E82
	v_and_b32_e32 v32, 15, v0                                  // 00000000488C: 2640008F
	v_and_b32_e32 v34, 1, v32                                  // 000000004890: 26444081
	v_mul_i32_i24_e32 v14, 0x108, v34                          // 000000004894: 0C1C44FF 00000108
	v_and_b32_e32 v34, 2, v32                                  // 00000000489C: 26444082
	v_lshlrev_b32_e32 v34, 1, v34                              // 0000000048A0: 24444481
	v_add_u32_e32 v14, v34, v14                                // 0000000048A4: 681C1D22
	v_and_b32_e32 v34, 4, v32                                  // 0000000048A8: 26444084
	v_lshlrev_b32_e32 v34, 2, v34                              // 0000000048AC: 24444482
	v_add_u32_e32 v14, v34, v14                                // 0000000048B0: 681C1D22
	v_and_b32_e32 v34, 8, v32                                  // 0000000048B4: 26444088
	v_add_u32_e32 v14, v34, v14                                // 0000000048B8: 681C1D22
	v_lshrrev_b32_e32 v32, 4, v0                               // 0000000048BC: 20400084
	v_and_b32_e32 v34, 1, v32                                  // 0000000048C0: 26444081
	v_lshlrev_b32_e32 v34, 5, v34                              // 0000000048C4: 24444485
	v_add_u32_e32 v14, v34, v14                                // 0000000048C8: 681C1D22
	v_and_b32_e32 v33, 2, v32                                  // 0000000048CC: 26424082
	v_mul_i32_i24_e32 v34, 32, v33                             // 0000000048D0: 0C4442A0
	v_mul_i32_i24_e32 v33, 0x110, v33                          // 0000000048D4: 0C4242FF 00000110
	v_add_u32_e32 v25, v33, v14                                // 0000000048DC: 68321D21
	v_add_u32_e32 v14, v34, v14                                // 0000000048E0: 681C1D22
	v_lshlrev_b32_e32 v14, 2, v14                              // 0000000048E4: 241C1C82
	v_lshlrev_b32_e32 v25, 2, v25                              // 0000000048E8: 24323282
	s_and_b32 s60, 1, s46                                      // 0000000048EC: 863C2E81
	s_mul_i32 s60, s60, 0x200                                  // 0000000048F0: 923CFF3C 00000200
	v_add_u32_e32 v25, s60, v25                                // 0000000048F8: 6832323C
	v_lshrrev_b32_e32 v32, 4, v0                               // 0000000048FC: 20400084
	v_mul_i32_i24_e32 v23, 4, v32                              // 000000004900: 0C2E4084
	v_and_b32_e32 v33, 3, v0                                   // 000000004904: 26420083
	v_add_u32_e32 v23, v33, v23                                // 000000004908: 682E2F21
	v_lshlrev_b32_e32 v23, 2, v23                              // 00000000490C: 242E2E82
	v_lshrrev_b32_e32 v32, 4, v0                               // 000000004910: 20400084
	v_and_b32_e32 v33, 1, v32                                  // 000000004914: 26424081
	v_mul_i32_i24_e32 v21, 0x100, v33                          // 000000004918: 0C2A42FF 00000100
	v_and_b32_e32 v33, 2, v32                                  // 000000004920: 26424082
	v_mul_i32_i24_e32 v33, 64, v33                             // 000000004924: 0C4242C0
	v_add_u32_e32 v21, v33, v21                                // 000000004928: 682A2B21
	v_and_b32_e32 v32, 15, v0                                  // 00000000492C: 2640008F
	v_mul_i32_i24_e32 v33, 2, v32                              // 000000004930: 0C424082
	v_add_u32_e32 v21, v33, v21                                // 000000004934: 682A2B21
	s_mul_i32 s60, s46, 32                                     // 000000004938: 923CA02E
	v_add_u32_e32 v21, s60, v21                                // 00000000493C: 682A2A3C
	v_lshlrev_b32_e32 v21, 2, v21                              // 000000004940: 242A2A82
	v_lshlrev_b32_e32 v22, 1, v0                               // 000000004944: 242C0081
	s_mul_i32 s60, s46, 0x200                                  // 000000004948: 923CFF2E 00000200
	v_add_u32_e32 v22, s60, v22                                // 000000004950: 682C2C3C
	v_lshlrev_b32_e32 v22, 2, v22                              // 000000004954: 242C2C82
	v_lshrrev_b32_e32 v32, 5, v0                               // 000000004958: 20400085
	v_mul_i32_i24_e32 v19, 64, v32                             // 00000000495C: 0C2640C0
	v_and_b32_e32 v32, 31, v0                                  // 000000004960: 2640009F
	v_and_b32_e32 v32, 3, v32                                  // 000000004964: 26404083
	v_and_b32_e32 v33, 1, v32                                  // 000000004968: 26424081
	v_mul_i32_i24_e32 v33, 4, v33                              // 00000000496C: 0C424284
	v_add_u32_e32 v19, v33, v19                                // 000000004970: 68262721
	v_and_b32_e32 v33, 2, v32                                  // 000000004974: 26424082
	v_mul_i32_i24_e32 v33, 0x44, v33                           // 000000004978: 0C4242FF 00000044
	v_add_u32_e32 v19, v33, v19                                // 000000004980: 68262721
	v_and_b32_e32 v32, 31, v0                                  // 000000004984: 2640009F
	v_lshrrev_b32_e32 v32, 2, v32                              // 000000004988: 20404082
	v_lshrrev_b32_e32 v34, 2, v32                              // 00000000498C: 20444082
	v_mul_i32_i24_e32 v33, 16, v34                             // 000000004990: 0C424490
	v_add_u32_e32 v19, v33, v19                                // 000000004994: 68262721
	v_and_b32_e32 v33, 2, v32                                  // 000000004998: 26424082
	v_lshlrev_b32_e32 v33, 4, v33                              // 00000000499C: 24424284
	v_add_u32_e32 v19, v33, v19                                // 0000000049A0: 68262721
	v_and_b32_e32 v33, 1, v32                                  // 0000000049A4: 26424081
	v_xor_b32_e32 v33, v34, v33                                // 0000000049A8: 2A424322
	v_mul_i32_i24_e32 v33, 8, v33                              // 0000000049AC: 0C424288
	v_add_u32_e32 v19, v33, v19                                // 0000000049B0: 68262721
	s_lshr_b32 s60, s46, 1                                     // 0000000049B4: 8F3C812E
	s_mul_i32 s60, s60, 0x6c0                                  // 0000000049B8: 923CFF3C 000006C0
	v_add_u32_e32 v19, s60, v19                                // 0000000049C0: 6826263C
	v_lshlrev_b32_e32 v19, 2, v19                              // 0000000049C4: 24262682
	v_lshrrev_b32_e32 v32, 5, v0                               // 0000000049C8: 20400085
	v_mul_i32_i24_e32 v20, 32, v32                             // 0000000049CC: 0C2840A0
	v_and_b32_e32 v32, 31, v0                                  // 0000000049D0: 2640009F
	v_and_b32_e32 v32, 3, v32                                  // 0000000049D4: 26404083
	v_and_b32_e32 v33, 1, v32                                  // 0000000049D8: 26424081
	v_mul_i32_i24_e32 v33, 4, v33                              // 0000000049DC: 0C424284
	v_add_u32_e32 v20, v33, v20                                // 0000000049E0: 68282921
	v_and_b32_e32 v33, 2, v32                                  // 0000000049E4: 26424082
	v_lshrrev_b32_e32 v33, 1, v33                              // 0000000049E8: 20424281
	v_add_u32_e32 v20, v33, v20                                // 0000000049EC: 68282921
	v_and_b32_e32 v32, 31, v0                                  // 0000000049F0: 2640009F
	v_lshrrev_b32_e32 v32, 2, v32                              // 0000000049F4: 20404082
	v_and_b32_e32 v34, 1, v32                                  // 0000000049F8: 26444081
	v_mul_i32_i24_e32 v33, 16, v34                             // 0000000049FC: 0C424490
	v_add_u32_e32 v20, v33, v20                                // 000000004A00: 68282921
	v_and_b32_e32 v33, 2, v32                                  // 000000004A04: 26424082
	v_add_u32_e32 v20, v33, v20                                // 000000004A08: 68282921
	v_lshrrev_b32_e32 v33, 2, v32                              // 000000004A0C: 20424082
	v_xor_b32_e32 v33, v34, v33                                // 000000004A10: 2A424322
	v_mul_i32_i24_e32 v33, 8, v33                              // 000000004A14: 0C424288
	v_add_u32_e32 v20, v33, v20                                // 000000004A18: 68282921
	s_and_b32 s60, 1, s46                                      // 000000004A1C: 863C2E81
	s_mul_i32 s60, s60, 64                                     // 000000004A20: 923CC03C
	s_lshr_b32 s61, s46, 1                                     // 000000004A24: 8F3D812E
	s_mul_i32 s61, s61, 0x120                                  // 000000004A28: 923DFF3D 00000120
	s_add_u32 s60, s60, s61                                    // 000000004A30: 803C3D3C
	v_add_u32_e32 v20, s60, v20                                // 000000004A34: 6828283C
	v_lshlrev_b32_e32 v20, 2, v20                              // 000000004A38: 24282882
	buffer_load_dword v180, v1, s[12:15], 0 idxen              // 000000004A3C: E0502000 8003B401
	buffer_load_dword v181, v2, s[12:15], 0 idxen              // 000000004A44: E0502000 8003B502
	s_mul_i32 s60, 4, s6                                       // 000000004A4C: 923C0684
	s_cmp_lt_i32 0, s72                                        // 000000004A50: BF044880
	s_cselect_b32 s60, s60, 0                                  // 000000004A54: 853C803C
	v_add_u32_e32 v1, s60, v1                                  // 000000004A58: 6802023C
	v_add_u32_e32 v2, s60, v2                                  // 000000004A5C: 6804043C
	buffer_load_dword v182, v1, s[12:15], 0 idxen              // 000000004A60: E0502000 8003B601
	buffer_load_dword v183, v2, s[12:15], 0 idxen              // 000000004A68: E0502000 8003B702
	s_mul_i32 s60, 4, s6                                       // 000000004A70: 923C0684
	s_cmp_lt_i32 0, s72                                        // 000000004A74: BF044880
	s_cselect_b32 s60, s60, 0                                  // 000000004A78: 853C803C
	v_add_u32_e32 v1, s60, v1                                  // 000000004A7C: 6802023C
	v_add_u32_e32 v2, s60, v2                                  // 000000004A80: 6804043C
	buffer_load_dword v184, v1, s[12:15], 0 idxen              // 000000004A84: E0502000 8003B801
	buffer_load_dword v185, v2, s[12:15], 0 idxen              // 000000004A8C: E0502000 8003B902
	s_mul_i32 s60, 4, s6                                       // 000000004A94: 923C0684
	s_cmp_lt_i32 0, s72                                        // 000000004A98: BF044880
	s_cselect_b32 s60, s60, 0                                  // 000000004A9C: 853C803C
	v_add_u32_e32 v1, s60, v1                                  // 000000004AA0: 6802023C
	v_add_u32_e32 v2, s60, v2                                  // 000000004AA4: 6804043C
	buffer_load_dword v186, v1, s[12:15], 0 idxen              // 000000004AA8: E0502000 8003BA01
	buffer_load_dword v187, v2, s[12:15], 0 idxen              // 000000004AB0: E0502000 8003BB02
	s_mul_i32 s60, 4, s6                                       // 000000004AB8: 923C0684
	s_cmp_lt_i32 1, s72                                        // 000000004ABC: BF044881
	s_cselect_b32 s60, s60, 0                                  // 000000004AC0: 853C803C
	v_add_u32_e32 v1, s60, v1                                  // 000000004AC4: 6802023C
	v_add_u32_e32 v2, s60, v2                                  // 000000004AC8: 6804043C
	buffer_load_dword v188, v1, s[12:15], 0 idxen              // 000000004ACC: E0502000 8003BC01
	buffer_load_dword v189, v2, s[12:15], 0 idxen              // 000000004AD4: E0502000 8003BD02
	s_mul_i32 s60, 4, s6                                       // 000000004ADC: 923C0684
	s_cmp_lt_i32 1, s72                                        // 000000004AE0: BF044881
	s_cselect_b32 s60, s60, 0                                  // 000000004AE4: 853C803C
	v_add_u32_e32 v1, s60, v1                                  // 000000004AE8: 6802023C
	v_add_u32_e32 v2, s60, v2                                  // 000000004AEC: 6804043C
	buffer_load_dword v190, v1, s[12:15], 0 idxen              // 000000004AF0: E0502000 8003BE01
	buffer_load_dword v191, v2, s[12:15], 0 idxen              // 000000004AF8: E0502000 8003BF02
	s_mul_i32 s60, 4, s6                                       // 000000004B00: 923C0684
	s_cmp_lt_i32 1, s72                                        // 000000004B04: BF044881
	s_cselect_b32 s60, s60, 0                                  // 000000004B08: 853C803C
	v_add_u32_e32 v1, s60, v1                                  // 000000004B0C: 6802023C
	v_add_u32_e32 v2, s60, v2                                  // 000000004B10: 6804043C
	buffer_load_dword v192, v1, s[12:15], 0 idxen              // 000000004B14: E0502000 8003C001
	buffer_load_dword v193, v2, s[12:15], 0 idxen              // 000000004B1C: E0502000 8003C102
	s_mul_i32 s60, 4, s6                                       // 000000004B24: 923C0684
	s_cmp_lt_i32 1, s72                                        // 000000004B28: BF044881
	s_cselect_b32 s60, s60, 0                                  // 000000004B2C: 853C803C
	v_add_u32_e32 v1, s60, v1                                  // 000000004B30: 6802023C
	v_add_u32_e32 v2, s60, v2                                  // 000000004B34: 6804043C
	buffer_load_dword v194, v1, s[12:15], 0 idxen              // 000000004B38: E0502000 8003C201
	buffer_load_dword v195, v2, s[12:15], 0 idxen              // 000000004B40: E0502000 8003C302
	s_mul_i32 s60, 4, s6                                       // 000000004B48: 923C0684
	s_cmp_lt_i32 2, s72                                        // 000000004B4C: BF044882
	s_cselect_b32 s60, s60, 0                                  // 000000004B50: 853C803C
	v_add_u32_e32 v1, s60, v1                                  // 000000004B54: 6802023C
	v_add_u32_e32 v2, s60, v2                                  // 000000004B58: 6804043C
	buffer_load_dword v196, v1, s[12:15], 0 idxen              // 000000004B5C: E0502000 8003C401
	buffer_load_dword v197, v2, s[12:15], 0 idxen              // 000000004B64: E0502000 8003C502
	s_mul_i32 s60, 4, s6                                       // 000000004B6C: 923C0684
	s_cmp_lt_i32 2, s72                                        // 000000004B70: BF044882
	s_cselect_b32 s60, s60, 0                                  // 000000004B74: 853C803C
	v_add_u32_e32 v1, s60, v1                                  // 000000004B78: 6802023C
	v_add_u32_e32 v2, s60, v2                                  // 000000004B7C: 6804043C
	buffer_load_dword v198, v1, s[12:15], 0 idxen              // 000000004B80: E0502000 8003C601
	buffer_load_dword v199, v2, s[12:15], 0 idxen              // 000000004B88: E0502000 8003C702
	s_mul_i32 s60, 4, s6                                       // 000000004B90: 923C0684
	s_cmp_lt_i32 2, s72                                        // 000000004B94: BF044882
	s_cselect_b32 s60, s60, 0                                  // 000000004B98: 853C803C
	v_add_u32_e32 v1, s60, v1                                  // 000000004B9C: 6802023C
	v_add_u32_e32 v2, s60, v2                                  // 000000004BA0: 6804043C
	buffer_load_dword v200, v1, s[12:15], 0 idxen              // 000000004BA4: E0502000 8003C801
	buffer_load_dword v201, v2, s[12:15], 0 idxen              // 000000004BAC: E0502000 8003C902
	s_mul_i32 s60, 4, s6                                       // 000000004BB4: 923C0684
	s_cmp_lt_i32 2, s72                                        // 000000004BB8: BF044882
	s_cselect_b32 s60, s60, 0                                  // 000000004BBC: 853C803C
	v_add_u32_e32 v1, s60, v1                                  // 000000004BC0: 6802023C
	v_add_u32_e32 v2, s60, v2                                  // 000000004BC4: 6804043C
	buffer_load_dword v202, v1, s[12:15], 0 idxen              // 000000004BC8: E0502000 8003CA01
	buffer_load_dword v203, v2, s[12:15], 0 idxen              // 000000004BD0: E0502000 8003CB02
	s_mul_i32 s60, 4, s6                                       // 000000004BD8: 923C0684
	s_cmp_lt_i32 3, s72                                        // 000000004BDC: BF044883
	s_cselect_b32 s60, s60, 0                                  // 000000004BE0: 853C803C
	v_add_u32_e32 v1, s60, v1                                  // 000000004BE4: 6802023C
	v_add_u32_e32 v2, s60, v2                                  // 000000004BE8: 6804043C
	s_waitcnt vmcnt(16) lgkmcnt(0)                             // 000000004BEC: BF8C4070
	s_barrier                                                  // 000000004BF0: BF8A0000
	s_cmp_lt_i32 0, s72                                        // 000000004BF4: BF044880
	s_cbranch_scc1 label_0307                                  // 000000004BF8: BF850008
	v_mov_b32_e32 v180, 0                                      // 000000004BFC: 7F680280
	v_mov_b32_e32 v181, 0                                      // 000000004C00: 7F6A0280
	v_mov_b32_e32 v182, 0                                      // 000000004C04: 7F6C0280
	v_mov_b32_e32 v183, 0                                      // 000000004C08: 7F6E0280
	v_mov_b32_e32 v184, 0                                      // 000000004C0C: 7F700280
	v_mov_b32_e32 v185, 0                                      // 000000004C10: 7F720280
	v_mov_b32_e32 v186, 0                                      // 000000004C14: 7F740280
	v_mov_b32_e32 v187, 0                                      // 000000004C18: 7F760280

0000000000004c1c <label_0307>:
	v_perm_b32 v204, v181, v180, s63                           // 000000004C1C: D1ED00CC 00FF69B5
	v_perm_b32 v205, v181, v180, s64                           // 000000004C24: D1ED00CD 010369B5
	v_perm_b32 v206, v183, v182, s63                           // 000000004C2C: D1ED00CE 00FF6DB7
	v_perm_b32 v207, v183, v182, s64                           // 000000004C34: D1ED00CF 01036DB7
	v_perm_b32 v208, v185, v184, s63                           // 000000004C3C: D1ED00D0 00FF71B9
	v_perm_b32 v209, v185, v184, s64                           // 000000004C44: D1ED00D1 010371B9
	v_perm_b32 v210, v187, v186, s63                           // 000000004C4C: D1ED00D2 00FF75BB
	v_perm_b32 v211, v187, v186, s64                           // 000000004C54: D1ED00D3 010375BB
	ds_write_b32 v15, v204 offset:8704                         // 000000004C5C: D81A2200 0000CC0F
	ds_write_b32 v15, v205 offset:9760                         // 000000004C64: D81A2620 0000CD0F
	ds_write_b32 v15, v206 offset:10880                        // 000000004C6C: D81A2A80 0000CE0F
	ds_write_b32 v15, v207 offset:11936                        // 000000004C74: D81A2EA0 0000CF0F
	ds_write_b32 v15, v208 offset:13056                        // 000000004C7C: D81A3300 0000D00F
	ds_write_b32 v15, v209 offset:14112                        // 000000004C84: D81A3720 0000D10F
	ds_write_b32 v15, v210 offset:15232                        // 000000004C8C: D81A3B80 0000D20F
	ds_write_b32 v15, v211 offset:16288                        // 000000004C94: D81A3FA0 0000D30F
	ds_write_b32 v13, v180                                     // 000000004C9C: D81A0000 0000B40D
	ds_write_b32 v13, v181 offset:1056                         // 000000004CA4: D81A0420 0000B50D
	ds_write_b32 v13, v182 offset:2176                         // 000000004CAC: D81A0880 0000B60D
	ds_write_b32 v13, v183 offset:3232                         // 000000004CB4: D81A0CA0 0000B70D
	ds_write_b32 v13, v184 offset:4352                         // 000000004CBC: D81A1100 0000B80D
	ds_write_b32 v13, v185 offset:5408                         // 000000004CC4: D81A1520 0000B90D
	ds_write_b32 v13, v186 offset:6528                         // 000000004CCC: D81A1980 0000BA0D
	ds_write_b32 v13, v187 offset:7584                         // 000000004CD4: D81A1DA0 0000BB0D
	buffer_load_dword v180, v232, s[16:19], 0 idxen            // 000000004CDC: E0502000 8004B4E8
	buffer_load_dword v181, v233, s[16:19], 0 idxen            // 000000004CE4: E0502000 8004B5E9
	s_mul_i32 s60, 4, s7                                       // 000000004CEC: 923C0784
	s_cmp_lt_i32 0, s72                                        // 000000004CF0: BF044880
	s_cselect_b32 s60, s60, 0                                  // 000000004CF4: 853C803C
	v_add_u32_e32 v232, s60, v232                              // 000000004CF8: 69D1D03C
	v_add_u32_e32 v233, s60, v233                              // 000000004CFC: 69D3D23C
	buffer_load_dword v182, v232, s[16:19], 0 idxen            // 000000004D00: E0502000 8004B6E8
	buffer_load_dword v183, v233, s[16:19], 0 idxen            // 000000004D08: E0502000 8004B7E9
	s_mul_i32 s60, 4, s7                                       // 000000004D10: 923C0784
	s_cmp_lt_i32 0, s72                                        // 000000004D14: BF044880
	s_cselect_b32 s60, s60, 0                                  // 000000004D18: 853C803C
	v_add_u32_e32 v232, s60, v232                              // 000000004D1C: 69D1D03C
	v_add_u32_e32 v233, s60, v233                              // 000000004D20: 69D3D23C
	buffer_load_dword v184, v232, s[16:19], 0 idxen            // 000000004D24: E0502000 8004B8E8
	buffer_load_dword v185, v233, s[16:19], 0 idxen            // 000000004D2C: E0502000 8004B9E9
	s_mul_i32 s60, 4, s7                                       // 000000004D34: 923C0784
	s_cmp_lt_i32 0, s72                                        // 000000004D38: BF044880
	s_cselect_b32 s60, s60, 0                                  // 000000004D3C: 853C803C
	v_add_u32_e32 v232, s60, v232                              // 000000004D40: 69D1D03C
	v_add_u32_e32 v233, s60, v233                              // 000000004D44: 69D3D23C
	buffer_load_dword v186, v232, s[16:19], 0 idxen            // 000000004D48: E0502000 8004BAE8
	buffer_load_dword v187, v233, s[16:19], 0 idxen            // 000000004D50: E0502000 8004BBE9
	s_mul_i32 s60, 4, s7                                       // 000000004D58: 923C0784
	s_cmp_lt_i32 1, s72                                        // 000000004D5C: BF044881
	s_cselect_b32 s60, s60, 0                                  // 000000004D60: 853C803C
	v_add_u32_e32 v232, s60, v232                              // 000000004D64: 69D1D03C
	v_add_u32_e32 v233, s60, v233                              // 000000004D68: 69D3D23C
	s_waitcnt lgkmcnt(0)                                       // 000000004D6C: BF8CC07F
	s_barrier                                                  // 000000004D70: BF8A0000
	ds_read_b128 a[24:27], v25 offset:8704                     // 000000004D74: DBFE2200 18000019
	ds_read_b128 a[28:31], v25 offset:8960                     // 000000004D7C: DBFE2300 1C000019
	ds_read_b128 a[32:35], v25 offset:13056                    // 000000004D84: DBFE3300 20000019
	ds_read_b128 a[36:39], v25 offset:13312                    // 000000004D8C: DBFE3400 24000019
	ds_read_b128 a[0:3], v24                                   // 000000004D94: DBFE0000 00000018
	ds_read_b128 a[4:7], v24 offset:512                        // 000000004D9C: DBFE0200 04000018
	s_waitcnt vmcnt(16) lgkmcnt(0)                             // 000000004DA4: BF8C4070
	s_barrier                                                  // 000000004DA8: BF8A0000
	s_cmp_lt_i32 1, s72                                        // 000000004DAC: BF044881
	s_cbranch_scc1 label_0375                                  // 000000004DB0: BF850008
	v_mov_b32_e32 v188, 0                                      // 000000004DB4: 7F780280
	v_mov_b32_e32 v189, 0                                      // 000000004DB8: 7F7A0280
	v_mov_b32_e32 v190, 0                                      // 000000004DBC: 7F7C0280
	v_mov_b32_e32 v191, 0                                      // 000000004DC0: 7F7E0280
	v_mov_b32_e32 v192, 0                                      // 000000004DC4: 7F800280
	v_mov_b32_e32 v193, 0                                      // 000000004DC8: 7F820280
	v_mov_b32_e32 v194, 0                                      // 000000004DCC: 7F840280
	v_mov_b32_e32 v195, 0                                      // 000000004DD0: 7F860280

0000000000004dd4 <label_0375>:
	v_perm_b32 v204, v189, v188, s63                           // 000000004DD4: D1ED00CC 00FF79BD
	v_perm_b32 v205, v189, v188, s64                           // 000000004DDC: D1ED00CD 010379BD
	v_perm_b32 v206, v191, v190, s63                           // 000000004DE4: D1ED00CE 00FF7DBF
	v_perm_b32 v207, v191, v190, s64                           // 000000004DEC: D1ED00CF 01037DBF
	v_perm_b32 v208, v193, v192, s63                           // 000000004DF4: D1ED00D0 00FF81C1
	v_perm_b32 v209, v193, v192, s64                           // 000000004DFC: D1ED00D1 010381C1
	v_perm_b32 v210, v195, v194, s63                           // 000000004E04: D1ED00D2 00FF85C3
	v_perm_b32 v211, v195, v194, s64                           // 000000004E0C: D1ED00D3 010385C3
	ds_write_b32 v15, v204 offset:8704                         // 000000004E14: D81A2200 0000CC0F
	ds_write_b32 v15, v205 offset:9760                         // 000000004E1C: D81A2620 0000CD0F
	ds_write_b32 v15, v206 offset:10880                        // 000000004E24: D81A2A80 0000CE0F
	ds_write_b32 v15, v207 offset:11936                        // 000000004E2C: D81A2EA0 0000CF0F
	ds_write_b32 v15, v208 offset:13056                        // 000000004E34: D81A3300 0000D00F
	ds_write_b32 v15, v209 offset:14112                        // 000000004E3C: D81A3720 0000D10F
	ds_write_b32 v15, v210 offset:15232                        // 000000004E44: D81A3B80 0000D20F
	ds_write_b32 v15, v211 offset:16288                        // 000000004E4C: D81A3FA0 0000D30F
	ds_write_b32 v13, v188                                     // 000000004E54: D81A0000 0000BC0D
	ds_write_b32 v13, v189 offset:1056                         // 000000004E5C: D81A0420 0000BD0D
	ds_write_b32 v13, v190 offset:2176                         // 000000004E64: D81A0880 0000BE0D
	ds_write_b32 v13, v191 offset:3232                         // 000000004E6C: D81A0CA0 0000BF0D
	ds_write_b32 v13, v192 offset:4352                         // 000000004E74: D81A1100 0000C00D
	ds_write_b32 v13, v193 offset:5408                         // 000000004E7C: D81A1520 0000C10D
	ds_write_b32 v13, v194 offset:6528                         // 000000004E84: D81A1980 0000C20D
	ds_write_b32 v13, v195 offset:7584                         // 000000004E8C: D81A1DA0 0000C30D
	buffer_load_dword v188, v232, s[16:19], 0 idxen            // 000000004E94: E0502000 8004BCE8
	buffer_load_dword v189, v233, s[16:19], 0 idxen            // 000000004E9C: E0502000 8004BDE9
	s_mul_i32 s60, 4, s7                                       // 000000004EA4: 923C0784
	s_cmp_lt_i32 1, s72                                        // 000000004EA8: BF044881
	s_cselect_b32 s60, s60, 0                                  // 000000004EAC: 853C803C
	v_add_u32_e32 v232, s60, v232                              // 000000004EB0: 69D1D03C
	v_add_u32_e32 v233, s60, v233                              // 000000004EB4: 69D3D23C
	buffer_load_dword v190, v232, s[16:19], 0 idxen            // 000000004EB8: E0502000 8004BEE8
	buffer_load_dword v191, v233, s[16:19], 0 idxen            // 000000004EC0: E0502000 8004BFE9
	s_mul_i32 s60, 4, s7                                       // 000000004EC8: 923C0784
	s_cmp_lt_i32 1, s72                                        // 000000004ECC: BF044881
	s_cselect_b32 s60, s60, 0                                  // 000000004ED0: 853C803C
	v_add_u32_e32 v232, s60, v232                              // 000000004ED4: 69D1D03C
	v_add_u32_e32 v233, s60, v233                              // 000000004ED8: 69D3D23C
	buffer_load_dword v192, v232, s[16:19], 0 idxen            // 000000004EDC: E0502000 8004C0E8
	buffer_load_dword v193, v233, s[16:19], 0 idxen            // 000000004EE4: E0502000 8004C1E9
	s_mul_i32 s60, 4, s7                                       // 000000004EEC: 923C0784
	s_cmp_lt_i32 1, s72                                        // 000000004EF0: BF044881
	s_cselect_b32 s60, s60, 0                                  // 000000004EF4: 853C803C
	v_add_u32_e32 v232, s60, v232                              // 000000004EF8: 69D1D03C
	v_add_u32_e32 v233, s60, v233                              // 000000004EFC: 69D3D23C
	buffer_load_dword v194, v232, s[16:19], 0 idxen            // 000000004F00: E0502000 8004C2E8
	buffer_load_dword v195, v233, s[16:19], 0 idxen            // 000000004F08: E0502000 8004C3E9
	s_mul_i32 s60, 4, s7                                       // 000000004F10: 923C0784
	s_cmp_lt_i32 2, s72                                        // 000000004F14: BF044882
	s_cselect_b32 s60, s60, 0                                  // 000000004F18: 853C803C
	v_add_u32_e32 v232, s60, v232                              // 000000004F1C: 69D1D03C
	v_add_u32_e32 v233, s60, v233                              // 000000004F20: 69D3D23C
	s_waitcnt lgkmcnt(0)                                       // 000000004F24: BF8CC07F
	s_barrier                                                  // 000000004F28: BF8A0000
	ds_read_b128 a[40:43], v25 offset:8704                     // 000000004F2C: DBFE2200 28000019
	ds_read_b128 a[44:47], v25 offset:8960                     // 000000004F34: DBFE2300 2C000019
	ds_read_b128 a[48:51], v25 offset:13056                    // 000000004F3C: DBFE3300 30000019
	ds_read_b128 a[52:55], v25 offset:13312                    // 000000004F44: DBFE3400 34000019
	ds_read_b128 a[8:11], v24                                  // 000000004F4C: DBFE0000 08000018
	ds_read_b128 a[12:15], v24 offset:512                      // 000000004F54: DBFE0200 0C000018
	s_waitcnt vmcnt(16) lgkmcnt(0)                             // 000000004F5C: BF8C4070
	s_barrier                                                  // 000000004F60: BF8A0000
	s_cmp_lt_i32 2, s72                                        // 000000004F64: BF044882
	s_cbranch_scc1 label_03E3                                  // 000000004F68: BF850008
	v_mov_b32_e32 v196, 0                                      // 000000004F6C: 7F880280
	v_mov_b32_e32 v197, 0                                      // 000000004F70: 7F8A0280
	v_mov_b32_e32 v198, 0                                      // 000000004F74: 7F8C0280
	v_mov_b32_e32 v199, 0                                      // 000000004F78: 7F8E0280
	v_mov_b32_e32 v200, 0                                      // 000000004F7C: 7F900280
	v_mov_b32_e32 v201, 0                                      // 000000004F80: 7F920280
	v_mov_b32_e32 v202, 0                                      // 000000004F84: 7F940280
	v_mov_b32_e32 v203, 0                                      // 000000004F88: 7F960280

0000000000004f8c <label_03E3>:
	v_perm_b32 v204, v197, v196, s63                           // 000000004F8C: D1ED00CC 00FF89C5
	v_perm_b32 v205, v197, v196, s64                           // 000000004F94: D1ED00CD 010389C5
	v_perm_b32 v206, v199, v198, s63                           // 000000004F9C: D1ED00CE 00FF8DC7
	v_perm_b32 v207, v199, v198, s64                           // 000000004FA4: D1ED00CF 01038DC7
	v_perm_b32 v208, v201, v200, s63                           // 000000004FAC: D1ED00D0 00FF91C9
	v_perm_b32 v209, v201, v200, s64                           // 000000004FB4: D1ED00D1 010391C9
	v_perm_b32 v210, v203, v202, s63                           // 000000004FBC: D1ED00D2 00FF95CB
	v_perm_b32 v211, v203, v202, s64                           // 000000004FC4: D1ED00D3 010395CB
	ds_write_b32 v15, v204 offset:8704                         // 000000004FCC: D81A2200 0000CC0F
	ds_write_b32 v15, v205 offset:9760                         // 000000004FD4: D81A2620 0000CD0F
	ds_write_b32 v15, v206 offset:10880                        // 000000004FDC: D81A2A80 0000CE0F
	ds_write_b32 v15, v207 offset:11936                        // 000000004FE4: D81A2EA0 0000CF0F
	ds_write_b32 v15, v208 offset:13056                        // 000000004FEC: D81A3300 0000D00F
	ds_write_b32 v15, v209 offset:14112                        // 000000004FF4: D81A3720 0000D10F
	ds_write_b32 v15, v210 offset:15232                        // 000000004FFC: D81A3B80 0000D20F
	ds_write_b32 v15, v211 offset:16288                        // 000000005004: D81A3FA0 0000D30F
	ds_write_b32 v13, v196                                     // 00000000500C: D81A0000 0000C40D
	ds_write_b32 v13, v197 offset:1056                         // 000000005014: D81A0420 0000C50D
	ds_write_b32 v13, v198 offset:2176                         // 00000000501C: D81A0880 0000C60D
	ds_write_b32 v13, v199 offset:3232                         // 000000005024: D81A0CA0 0000C70D
	ds_write_b32 v13, v200 offset:4352                         // 00000000502C: D81A1100 0000C80D
	ds_write_b32 v13, v201 offset:5408                         // 000000005034: D81A1520 0000C90D
	ds_write_b32 v13, v202 offset:6528                         // 00000000503C: D81A1980 0000CA0D
	ds_write_b32 v13, v203 offset:7584                         // 000000005044: D81A1DA0 0000CB0D
	buffer_load_dword v196, v232, s[16:19], 0 idxen            // 00000000504C: E0502000 8004C4E8
	buffer_load_dword v197, v233, s[16:19], 0 idxen            // 000000005054: E0502000 8004C5E9
	s_mul_i32 s60, 4, s7                                       // 00000000505C: 923C0784
	s_cmp_lt_i32 2, s72                                        // 000000005060: BF044882
	s_cselect_b32 s60, s60, 0                                  // 000000005064: 853C803C
	v_add_u32_e32 v232, s60, v232                              // 000000005068: 69D1D03C
	v_add_u32_e32 v233, s60, v233                              // 00000000506C: 69D3D23C
	buffer_load_dword v198, v232, s[16:19], 0 idxen            // 000000005070: E0502000 8004C6E8
	buffer_load_dword v199, v233, s[16:19], 0 idxen            // 000000005078: E0502000 8004C7E9
	s_mul_i32 s60, 4, s7                                       // 000000005080: 923C0784
	s_cmp_lt_i32 2, s72                                        // 000000005084: BF044882
	s_cselect_b32 s60, s60, 0                                  // 000000005088: 853C803C
	v_add_u32_e32 v232, s60, v232                              // 00000000508C: 69D1D03C
	v_add_u32_e32 v233, s60, v233                              // 000000005090: 69D3D23C
	buffer_load_dword v200, v232, s[16:19], 0 idxen            // 000000005094: E0502000 8004C8E8
	buffer_load_dword v201, v233, s[16:19], 0 idxen            // 00000000509C: E0502000 8004C9E9
	s_mul_i32 s60, 4, s7                                       // 0000000050A4: 923C0784
	s_cmp_lt_i32 2, s72                                        // 0000000050A8: BF044882
	s_cselect_b32 s60, s60, 0                                  // 0000000050AC: 853C803C
	v_add_u32_e32 v232, s60, v232                              // 0000000050B0: 69D1D03C
	v_add_u32_e32 v233, s60, v233                              // 0000000050B4: 69D3D23C
	buffer_load_dword v202, v232, s[16:19], 0 idxen            // 0000000050B8: E0502000 8004CAE8
	buffer_load_dword v203, v233, s[16:19], 0 idxen            // 0000000050C0: E0502000 8004CBE9
	s_mul_i32 s60, 4, s7                                       // 0000000050C8: 923C0784
	s_cmp_lt_i32 3, s72                                        // 0000000050CC: BF044883
	s_cselect_b32 s60, s60, 0                                  // 0000000050D0: 853C803C
	v_add_u32_e32 v232, s60, v232                              // 0000000050D4: 69D1D03C
	v_add_u32_e32 v233, s60, v233                              // 0000000050D8: 69D3D23C
	s_waitcnt lgkmcnt(0)                                       // 0000000050DC: BF8CC07F
	s_barrier                                                  // 0000000050E0: BF8A0000
	ds_read_b128 a[56:59], v25 offset:8704                     // 0000000050E4: DBFE2200 38000019
	ds_read_b128 a[60:63], v25 offset:8960                     // 0000000050EC: DBFE2300 3C000019
	ds_read_b128 a[64:67], v25 offset:13056                    // 0000000050F4: DBFE3300 40000019
	ds_read_b128 a[68:71], v25 offset:13312                    // 0000000050FC: DBFE3400 44000019
	ds_read_b128 a[16:19], v24                                 // 000000005104: DBFE0000 10000018
	ds_read_b128 a[20:23], v24 offset:512                      // 00000000510C: DBFE0200 14000018
	s_waitcnt vmcnt(16) lgkmcnt(0)                             // 000000005114: BF8C4070
	s_barrier                                                  // 000000005118: BF8A0000
	s_cmp_lt_i32 0, s72                                        // 00000000511C: BF044880
	s_cbranch_scc1 label_0451                                  // 000000005120: BF850008
	v_mov_b32_e32 v180, 0                                      // 000000005124: 7F680280
	v_mov_b32_e32 v181, 0                                      // 000000005128: 7F6A0280
	v_mov_b32_e32 v182, 0                                      // 00000000512C: 7F6C0280
	v_mov_b32_e32 v183, 0                                      // 000000005130: 7F6E0280
	v_mov_b32_e32 v184, 0                                      // 000000005134: 7F700280
	v_mov_b32_e32 v185, 0                                      // 000000005138: 7F720280
	v_mov_b32_e32 v186, 0                                      // 00000000513C: 7F740280
	v_mov_b32_e32 v187, 0                                      // 000000005140: 7F760280

0000000000005144 <label_0451>:
	ds_write_b32 v13, v180                                     // 000000005144: D81A0000 0000B40D
	ds_write_b32 v13, v181 offset:1056                         // 00000000514C: D81A0420 0000B50D
	ds_write_b32 v13, v182 offset:2176                         // 000000005154: D81A0880 0000B60D
	ds_write_b32 v13, v183 offset:3232                         // 00000000515C: D81A0CA0 0000B70D
	ds_write_b32 v13, v184 offset:4352                         // 000000005164: D81A1100 0000B80D
	ds_write_b32 v13, v185 offset:5408                         // 00000000516C: D81A1520 0000B90D
	ds_write_b32 v13, v186 offset:6528                         // 000000005174: D81A1980 0000BA0D
	ds_write_b32 v13, v187 offset:7584                         // 00000000517C: D81A1DA0 0000BB0D
	s_mov_b32 s71, s5                                          // 000000005184: BEC70005
	v_lshrrev_b32_e32 v32, 4, v0                               // 000000005188: 20400084
	v_and_b32_e32 v33, 1, v32                                  // 00000000518C: 26424081
	v_lshlrev_b32_e32 v33, 1, v33                              // 000000005190: 24424281
	v_mul_i32_i24_e32 v33, s71, v33                            // 000000005194: 0C424247
	v_and_b32_e32 v34, 2, v32                                  // 000000005198: 26444082
	v_lshlrev_b32_e32 v34, 5, v34                              // 00000000519C: 24444485
	v_add_u32_e32 v33, v34, v33                                // 0000000051A0: 68424322
	v_and_b32_e32 v32, 15, v0                                  // 0000000051A4: 2640008F
	v_lshlrev_b32_e32 v32, 2, v32                              // 0000000051A8: 24404082
	v_add_u32_e32 v1, v32, v33                                 // 0000000051AC: 68024320
	s_mul_i32 s60, s46, s71                                    // 0000000051B0: 923C472E
	s_mul_i32 s60, s60, 4                                      // 0000000051B4: 923C843C
	v_add_u32_e32 v1, s60, v1                                  // 0000000051B8: 6802023C
	v_add_u32_e32 v2, s71, v1                                  // 0000000051BC: 68040247
	s_mul_i32 s60, 16, s71                                     // 0000000051C0: 923C4790
	v_add_u32_e32 v3, s60, v1                                  // 0000000051C4: 6806023C
	v_add_u32_e32 v4, s60, v2                                  // 0000000051C8: 6808043C
	s_mov_b32 s71, s51                                         // 0000000051CC: BEC70033
	v_lshrrev_b32_e32 v32, 4, v0                               // 0000000051D0: 20400084
	v_and_b32_e32 v33, 1, v32                                  // 0000000051D4: 26424081
	v_lshlrev_b32_e32 v33, 1, v33                              // 0000000051D8: 24424281
	v_mul_i32_i24_e32 v33, s71, v33                            // 0000000051DC: 0C424247
	v_and_b32_e32 v34, 2, v32                                  // 0000000051E0: 26444082
	v_lshlrev_b32_e32 v34, 5, v34                              // 0000000051E4: 24444485
	v_add_u32_e32 v33, v34, v33                                // 0000000051E8: 68424322
	v_and_b32_e32 v32, 15, v0                                  // 0000000051EC: 2640008F
	v_lshlrev_b32_e32 v32, 2, v32                              // 0000000051F0: 24404082
	v_add_u32_e32 v232, v32, v33                               // 0000000051F4: 69D04320
	s_mul_i32 s60, s46, s71                                    // 0000000051F8: 923C472E
	s_mul_i32 s60, s60, 4                                      // 0000000051FC: 923C843C
	v_add_u32_e32 v232, s60, v232                              // 000000005200: 69D1D03C
	v_add_u32_e32 v233, s71, v232                              // 000000005204: 69D3D047
	s_mul_i32 s60, 16, s71                                     // 000000005208: 923C4790
	v_add_u32_e32 v234, s60, v232                              // 00000000520C: 69D5D03C
	v_add_u32_e32 v235, s60, v233                              // 000000005210: 69D7D23C
	v_lshrrev_b32_e32 v1, 2, v1                                // 000000005214: 20020282
	v_lshrrev_b32_e32 v2, 2, v2                                // 000000005218: 20040482
	v_lshrrev_b32_e32 v3, 2, v3                                // 00000000521C: 20060682
	v_lshrrev_b32_e32 v4, 2, v4                                // 000000005220: 20080882
	v_lshrrev_b32_e32 v232, 2, v232                            // 000000005224: 21D1D082
	v_lshrrev_b32_e32 v233, 2, v233                            // 000000005228: 21D3D282
	v_lshrrev_b32_e32 v234, 2, v234                            // 00000000522C: 21D5D482
	v_lshrrev_b32_e32 v235, 2, v235                            // 000000005230: 21D7D682
	buffer_load_dword v36, v1, s[8:11], 0 idxen                // 000000005234: E0502000 80022401
	buffer_load_dword v37, v2, s[8:11], 0 idxen                // 00000000523C: E0502000 80022502
	buffer_load_dword v38, v3, s[8:11], 0 idxen                // 000000005244: E0502000 80022603
	buffer_load_dword v39, v4, s[8:11], 0 idxen                // 00000000524C: E0502000 80022704
	buffer_load_dword v44, v232, s[20:23], 0 idxen             // 000000005254: E0502000 80052CE8
	buffer_load_dword v45, v233, s[20:23], 0 idxen             // 00000000525C: E0502000 80052DE9
	buffer_load_dword v46, v234, s[20:23], 0 idxen             // 000000005264: E0502000 80052EEA
	buffer_load_dword v47, v235, s[20:23], 0 idxen             // 00000000526C: E0502000 80052FEB
	s_waitcnt lgkmcnt(0)                                       // 000000005274: BF8CC07F
	s_barrier                                                  // 000000005278: BF8A0000
	ds_read_b128 a[72:75], v24                                 // 00000000527C: DBFE0000 48000018
	ds_read_b128 a[76:79], v24 offset:512                      // 000000005284: DBFE0200 4C000018
	v_add_u32_e32 v1, s68, v1                                  // 00000000528C: 68020244
	v_add_u32_e32 v2, s68, v2                                  // 000000005290: 68040444
	v_add_u32_e32 v3, s68, v3                                  // 000000005294: 68060644
	;; [unrolled: 1-line block ×3, first 2 shown]
	v_add_u32_e32 v232, s99, v232                              // 00000000529C: 69D1D063
	v_add_u32_e32 v233, s99, v233                              // 0000000052A0: 69D3D263
	v_add_u32_e32 v234, s99, v234                              // 0000000052A4: 69D5D463
	v_add_u32_e32 v235, s99, v235                              // 0000000052A8: 69D7D663
	s_waitcnt vmcnt(16) lgkmcnt(0)                             // 0000000052AC: BF8C4070
	s_barrier                                                  // 0000000052B0: BF8A0000
	s_cmp_lt_i32 1, s72                                        // 0000000052B4: BF044881
	s_cbranch_scc1 label_04B7                                  // 0000000052B8: BF850008
	v_mov_b32_e32 v188, 0                                      // 0000000052BC: 7F780280
	v_mov_b32_e32 v189, 0                                      // 0000000052C0: 7F7A0280
	v_mov_b32_e32 v190, 0                                      // 0000000052C4: 7F7C0280
	v_mov_b32_e32 v191, 0                                      // 0000000052C8: 7F7E0280
	v_mov_b32_e32 v192, 0                                      // 0000000052CC: 7F800280
	v_mov_b32_e32 v193, 0                                      // 0000000052D0: 7F820280
	v_mov_b32_e32 v194, 0                                      // 0000000052D4: 7F840280
	v_mov_b32_e32 v195, 0                                      // 0000000052D8: 7F860280

00000000000052dc <label_04B7>:
	ds_write_b32 v13, v188                                     // 0000000052DC: D81A0000 0000BC0D
	ds_write_b32 v13, v189 offset:1056                         // 0000000052E4: D81A0420 0000BD0D
	ds_write_b32 v13, v190 offset:2176                         // 0000000052EC: D81A0880 0000BE0D
	ds_write_b32 v13, v191 offset:3232                         // 0000000052F4: D81A0CA0 0000BF0D
	ds_write_b32 v13, v192 offset:4352                         // 0000000052FC: D81A1100 0000C00D
	ds_write_b32 v13, v193 offset:5408                         // 000000005304: D81A1520 0000C10D
	ds_write_b32 v13, v194 offset:6528                         // 00000000530C: D81A1980 0000C20D
	ds_write_b32 v13, v195 offset:7584                         // 000000005314: D81A1DA0 0000C30D
	buffer_load_dword v40, v1, s[8:11], 0 idxen                // 00000000531C: E0502000 80022801
	buffer_load_dword v41, v2, s[8:11], 0 idxen                // 000000005324: E0502000 80022902
	buffer_load_dword v42, v3, s[8:11], 0 idxen                // 00000000532C: E0502000 80022A03
	buffer_load_dword v43, v4, s[8:11], 0 idxen                // 000000005334: E0502000 80022B04
	buffer_load_dword v48, v232, s[20:23], 0 idxen             // 00000000533C: E0502000 800530E8
	buffer_load_dword v49, v233, s[20:23], 0 idxen             // 000000005344: E0502000 800531E9
	buffer_load_dword v50, v234, s[20:23], 0 idxen             // 00000000534C: E0502000 800532EA
	buffer_load_dword v51, v235, s[20:23], 0 idxen             // 000000005354: E0502000 800533EB
	s_waitcnt lgkmcnt(0)                                       // 00000000535C: BF8CC07F
	s_barrier                                                  // 000000005360: BF8A0000
	ds_read_b128 a[80:83], v24                                 // 000000005364: DBFE0000 50000018
	ds_read_b128 a[84:87], v24 offset:512                      // 00000000536C: DBFE0200 54000018
	s_add_u32 s60, 64, s59                                     // 000000005374: 803C3BC0
	s_cmp_lt_u32 s60, s58                                      // 000000005378: BF0A3A3C
	s_cselect_b32 s68, s68, 0                                  // 00000000537C: 85448044
	s_cselect_b32 s99, s99, 0                                  // 000000005380: 85638063
	v_add_u32_e32 v1, s68, v1                                  // 000000005384: 68020244
	v_add_u32_e32 v2, s68, v2                                  // 000000005388: 68040444
	v_add_u32_e32 v3, s68, v3                                  // 00000000538C: 68060644
	v_add_u32_e32 v4, s68, v4                                  // 000000005390: 68080844
	v_add_u32_e32 v232, s99, v232                              // 000000005394: 69D1D063
	v_add_u32_e32 v233, s99, v233                              // 000000005398: 69D3D263
	v_add_u32_e32 v234, s99, v234                              // 00000000539C: 69D5D463
	v_add_u32_e32 v235, s99, v235                              // 0000000053A0: 69D7D663
	s_waitcnt vmcnt(16) lgkmcnt(0)                             // 0000000053A4: BF8C4070
	s_barrier                                                  // 0000000053A8: BF8A0000
	s_cmp_lt_i32 2, s72                                        // 0000000053AC: BF044882
	s_cbranch_scc1 label_04F5                                  // 0000000053B0: BF850008
	v_mov_b32_e32 v196, 0                                      // 0000000053B4: 7F880280
	v_mov_b32_e32 v197, 0                                      // 0000000053B8: 7F8A0280
	v_mov_b32_e32 v198, 0                                      // 0000000053BC: 7F8C0280
	v_mov_b32_e32 v199, 0                                      // 0000000053C0: 7F8E0280
	v_mov_b32_e32 v200, 0                                      // 0000000053C4: 7F900280
	v_mov_b32_e32 v201, 0                                      // 0000000053C8: 7F920280
	v_mov_b32_e32 v202, 0                                      // 0000000053CC: 7F940280
	v_mov_b32_e32 v203, 0                                      // 0000000053D0: 7F960280

00000000000053d4 <label_04F5>:
	ds_write_b32 v13, v196                                     // 0000000053D4: D81A0000 0000C40D
	ds_write_b32 v13, v197 offset:1056                         // 0000000053DC: D81A0420 0000C50D
	ds_write_b32 v13, v198 offset:2176                         // 0000000053E4: D81A0880 0000C60D
	ds_write_b32 v13, v199 offset:3232                         // 0000000053EC: D81A0CA0 0000C70D
	ds_write_b32 v13, v200 offset:4352                         // 0000000053F4: D81A1100 0000C80D
	ds_write_b32 v13, v201 offset:5408                         // 0000000053FC: D81A1520 0000C90D
	ds_write_b32 v13, v202 offset:6528                         // 000000005404: D81A1980 0000CA0D
	ds_write_b32 v13, v203 offset:7584                         // 00000000540C: D81A1DA0 0000CB0D
	s_waitcnt lgkmcnt(0)                                       // 000000005414: BF8CC07F
	s_barrier                                                  // 000000005418: BF8A0000
	ds_read_b128 a[88:91], v24                                 // 00000000541C: DBFE0000 58000018
	ds_read_b128 a[92:95], v24 offset:512                      // 000000005424: DBFE0200 5C000018
	s_waitcnt vmcnt(8) lgkmcnt(0)                              // 00000000542C: BF8C0078
	s_barrier                                                  // 000000005430: BF8A0000
	buffer_load_dword v11, s[24:27], 0 idxen lds               // 000000005434: E0512000 8006000B
	s_mov_b32 m0, s81                                          // 00000000543C: BEFC0051
	v_add_u32_e32 v11, s69, v11                                // 000000005440: 68161645
	v_perm_b32 v100, v37, v36, s63                             // 000000005444: D1ED0064 00FE4925
	v_perm_b32 v101, v37, v36, s64                             // 00000000544C: D1ED0065 01024925
	v_perm_b32 v102, v39, v38, s63                             // 000000005454: D1ED0066 00FE4D27
	v_perm_b32 v103, v39, v38, s64                             // 00000000545C: D1ED0067 01024D27
	ds_write_b32 v15, v100 offset:4352                         // 000000005464: D81A1100 0000640F
	ds_write_b32 v15, v101 offset:5408                         // 00000000546C: D81A1520 0000650F
	ds_write_b32 v15, v102 offset:6528                         // 000000005474: D81A1980 0000660F
	ds_write_b32 v15, v103 offset:7584                         // 00000000547C: D81A1DA0 0000670F
	ds_write_b32 v13, v36                                      // 000000005484: D81A0000 0000240D
	ds_write_b32 v13, v37 offset:1056                          // 00000000548C: D81A0420 0000250D
	ds_write_b32 v13, v38 offset:2176                          // 000000005494: D81A0880 0000260D
	ds_write_b32 v13, v39 offset:3232                          // 00000000549C: D81A0CA0 0000270D
	buffer_load_dword v11, s[24:27], 0 idxen lds               // 0000000054A4: E0512000 8006000B
	s_add_u32 s60, 64, s59                                     // 0000000054AC: 803C3BC0
	s_cmp_lt_u32 s60, s58                                      // 0000000054B0: BF0A3A3C
	s_cselect_b32 s69, s69, 0                                  // 0000000054B4: 85458045
	s_mov_b32 m0, s80                                          // 0000000054B8: BEFC0050
	v_add_u32_e32 v11, s69, v11                                // 0000000054BC: 68161645
	v_perm_b32 v104, v45, v44, s63                             // 0000000054C0: D1ED0068 00FE592D
	v_perm_b32 v105, v45, v44, s64                             // 0000000054C8: D1ED0069 0102592D
	v_perm_b32 v106, v47, v46, s63                             // 0000000054D0: D1ED006A 00FE5D2F
	v_perm_b32 v107, v47, v46, s64                             // 0000000054D8: D1ED006B 01025D2F
	ds_write_b32 v15, v104 offset:13056                        // 0000000054E0: D81A3300 0000680F
	ds_write_b32 v15, v105 offset:14112                        // 0000000054E8: D81A3720 0000690F
	ds_write_b32 v15, v106 offset:15232                        // 0000000054F0: D81A3B80 00006A0F
	ds_write_b32 v15, v107 offset:16288                        // 0000000054F8: D81A3FA0 00006B0F
	ds_write_b32 v13, v44 offset:8704                          // 000000005500: D81A2200 00002C0D
	ds_write_b32 v13, v45 offset:9760                          // 000000005508: D81A2620 00002D0D
	ds_write_b32 v13, v46 offset:10880                         // 000000005510: D81A2A80 00002E0D
	ds_write_b32 v13, v47 offset:11936                         // 000000005518: D81A2EA0 00002F0D
	s_waitcnt vmcnt(1) lgkmcnt(0)                              // 000000005520: BF8C0071
	s_barrier                                                  // 000000005524: BF8A0000
	ds_read_b128 a[96:99], v12                                 // 000000005528: DBFE0000 6000000C
	ds_read_b128 a[100:103], v12 offset:512                    // 000000005530: DBFE0200 6400000C
	ds_read_b128 a[104:107], v12 offset:2176                   // 000000005538: DBFE0880 6800000C
	ds_read_b128 a[108:111], v12 offset:2688                   // 000000005540: DBFE0A80 6C00000C
	ds_read_b128 v[108:111], v12 offset:8704                   // 000000005548: D9FE2200 6C00000C
	ds_read_b128 v[112:115], v12 offset:9216                   // 000000005550: D9FE2400 7000000C
	ds_read_b128 v[116:119], v12 offset:10880                  // 000000005558: D9FE2A80 7400000C
	ds_read_b128 v[120:123], v12 offset:11392                  // 000000005560: D9FE2C80 7800000C
	ds_read_b32 v140, v23 offset:39424                         // 000000005568: D86C9A00 8C000017
	ds_read_b32 v144, v23 offset:39488                         // 000000005570: D86C9A40 90000017
	ds_read_b32 v176, v23 offset:39680                         // 000000005578: D86C9B00 B0000017
	ds_read_b32 v177, v23 offset:39744                         // 000000005580: D86C9B40 B1000017
	v_accvgpr_write_b32 a112, 0                                // 000000005588: D3D94070 18000080
	v_mov_b32_e32 v180, 0                                      // 000000005590: 7F680280
	v_accvgpr_write_b32 a113, 0                                // 000000005594: D3D94071 18000080
	v_mov_b32_e32 v181, 0                                      // 00000000559C: 7F6A0280
	v_accvgpr_write_b32 a114, 0                                // 0000000055A0: D3D94072 18000080
	v_mov_b32_e32 v182, 0                                      // 0000000055A8: 7F6C0280
	v_accvgpr_write_b32 a115, 0                                // 0000000055AC: D3D94073 18000080
	v_mov_b32_e32 v183, 0                                      // 0000000055B4: 7F6E0280
	v_accvgpr_write_b32 a116, 0                                // 0000000055B8: D3D94074 18000080
	v_mov_b32_e32 v184, 0                                      // 0000000055C0: 7F700280
	v_accvgpr_write_b32 a117, 0                                // 0000000055C4: D3D94075 18000080
	v_mov_b32_e32 v185, 0                                      // 0000000055CC: 7F720280
	v_accvgpr_write_b32 a118, 0                                // 0000000055D0: D3D94076 18000080
	v_mov_b32_e32 v186, 0                                      // 0000000055D8: 7F740280
	v_accvgpr_write_b32 a119, 0                                // 0000000055DC: D3D94077 18000080
	v_mov_b32_e32 v187, 0                                      // 0000000055E4: 7F760280
	v_accvgpr_write_b32 a120, 0                                // 0000000055E8: D3D94078 18000080
	v_mov_b32_e32 v188, 0                                      // 0000000055F0: 7F780280
	v_accvgpr_write_b32 a121, 0                                // 0000000055F4: D3D94079 18000080
	v_mov_b32_e32 v189, 0                                      // 0000000055FC: 7F7A0280
	v_accvgpr_write_b32 a122, 0                                // 000000005600: D3D9407A 18000080
	v_mov_b32_e32 v190, 0                                      // 000000005608: 7F7C0280
	v_accvgpr_write_b32 a123, 0                                // 00000000560C: D3D9407B 18000080
	v_mov_b32_e32 v191, 0                                      // 000000005614: 7F7E0280
	v_accvgpr_write_b32 a124, 0                                // 000000005618: D3D9407C 18000080
	v_mov_b32_e32 v192, 0                                      // 000000005620: 7F800280
	v_accvgpr_write_b32 a125, 0                                // 000000005624: D3D9407D 18000080
	v_mov_b32_e32 v193, 0                                      // 00000000562C: 7F820280
	v_accvgpr_write_b32 a126, 0                                // 000000005630: D3D9407E 18000080
	v_mov_b32_e32 v194, 0                                      // 000000005638: 7F840280
	v_accvgpr_write_b32 a127, 0                                // 00000000563C: D3D9407F 18000080
	v_mov_b32_e32 v195, 0                                      // 000000005644: 7F860280
	v_accvgpr_write_b32 a128, 0                                // 000000005648: D3D94080 18000080
	v_mov_b32_e32 v196, 0                                      // 000000005650: 7F880280
	v_accvgpr_write_b32 a129, 0                                // 000000005654: D3D94081 18000080
	v_mov_b32_e32 v197, 0                                      // 00000000565C: 7F8A0280
	v_accvgpr_write_b32 a130, 0                                // 000000005660: D3D94082 18000080
	v_mov_b32_e32 v198, 0                                      // 000000005668: 7F8C0280
	v_accvgpr_write_b32 a131, 0                                // 00000000566C: D3D94083 18000080
	v_mov_b32_e32 v199, 0                                      // 000000005674: 7F8E0280
	v_accvgpr_write_b32 a132, 0                                // 000000005678: D3D94084 18000080
	v_mov_b32_e32 v200, 0                                      // 000000005680: 7F900280
	v_accvgpr_write_b32 a133, 0                                // 000000005684: D3D94085 18000080
	v_mov_b32_e32 v201, 0                                      // 00000000568C: 7F920280
	v_accvgpr_write_b32 a134, 0                                // 000000005690: D3D94086 18000080
	v_mov_b32_e32 v202, 0                                      // 000000005698: 7F940280
	v_accvgpr_write_b32 a135, 0                                // 00000000569C: D3D94087 18000080
	v_mov_b32_e32 v203, 0                                      // 0000000056A4: 7F960280
	v_accvgpr_write_b32 a136, 0                                // 0000000056A8: D3D94088 18000080
	v_mov_b32_e32 v204, 0                                      // 0000000056B0: 7F980280
	v_accvgpr_write_b32 a137, 0                                // 0000000056B4: D3D94089 18000080
	v_mov_b32_e32 v205, 0                                      // 0000000056BC: 7F9A0280
	v_accvgpr_write_b32 a138, 0                                // 0000000056C0: D3D9408A 18000080
	v_mov_b32_e32 v206, 0                                      // 0000000056C8: 7F9C0280
	v_accvgpr_write_b32 a139, 0                                // 0000000056CC: D3D9408B 18000080
	v_mov_b32_e32 v207, 0                                      // 0000000056D4: 7F9E0280
	v_accvgpr_write_b32 a140, 0                                // 0000000056D8: D3D9408C 18000080
	v_mov_b32_e32 v208, 0                                      // 0000000056E0: 7FA00280
	v_accvgpr_write_b32 a141, 0                                // 0000000056E4: D3D9408D 18000080
	v_mov_b32_e32 v209, 0                                      // 0000000056EC: 7FA20280
	v_accvgpr_write_b32 a142, 0                                // 0000000056F0: D3D9408E 18000080
	v_mov_b32_e32 v210, 0                                      // 0000000056F8: 7FA40280
	v_accvgpr_write_b32 a143, 0                                // 0000000056FC: D3D9408F 18000080
	v_mov_b32_e32 v211, 0                                      // 000000005704: 7FA60280
	v_accvgpr_write_b32 a144, 0                                // 000000005708: D3D94090 18000080
	v_mov_b32_e32 v212, 0                                      // 000000005710: 7FA80280
	v_accvgpr_write_b32 a145, 0                                // 000000005714: D3D94091 18000080
	v_mov_b32_e32 v213, 0                                      // 00000000571C: 7FAA0280
	v_accvgpr_write_b32 a146, 0                                // 000000005720: D3D94092 18000080
	v_mov_b32_e32 v214, 0                                      // 000000005728: 7FAC0280
	v_accvgpr_write_b32 a147, 0                                // 00000000572C: D3D94093 18000080
	v_mov_b32_e32 v215, 0                                      // 000000005734: 7FAE0280
	v_accvgpr_write_b32 a148, 0                                // 000000005738: D3D94094 18000080
	v_mov_b32_e32 v216, 0                                      // 000000005740: 7FB00280
	v_accvgpr_write_b32 a149, 0                                // 000000005744: D3D94095 18000080
	v_mov_b32_e32 v217, 0                                      // 00000000574C: 7FB20280
	v_accvgpr_write_b32 a150, 0                                // 000000005750: D3D94096 18000080
	v_mov_b32_e32 v218, 0                                      // 000000005758: 7FB40280
	v_accvgpr_write_b32 a151, 0                                // 00000000575C: D3D94097 18000080
	v_mov_b32_e32 v219, 0                                      // 000000005764: 7FB60280
	v_accvgpr_write_b32 a152, 0                                // 000000005768: D3D94098 18000080
	v_mov_b32_e32 v220, 0                                      // 000000005770: 7FB80280
	v_accvgpr_write_b32 a153, 0                                // 000000005774: D3D94099 18000080
	v_mov_b32_e32 v221, 0                                      // 00000000577C: 7FBA0280
	v_accvgpr_write_b32 a154, 0                                // 000000005780: D3D9409A 18000080
	v_mov_b32_e32 v222, 0                                      // 000000005788: 7FBC0280
	v_accvgpr_write_b32 a155, 0                                // 00000000578C: D3D9409B 18000080
	v_mov_b32_e32 v223, 0                                      // 000000005794: 7FBE0280
	v_accvgpr_write_b32 a156, 0                                // 000000005798: D3D9409C 18000080
	v_mov_b32_e32 v224, 0                                      // 0000000057A0: 7FC00280
	v_accvgpr_write_b32 a157, 0                                // 0000000057A4: D3D9409D 18000080
	v_mov_b32_e32 v225, 0                                      // 0000000057AC: 7FC20280
	v_accvgpr_write_b32 a158, 0                                // 0000000057B0: D3D9409E 18000080
	v_mov_b32_e32 v226, 0                                      // 0000000057B8: 7FC40280
	v_accvgpr_write_b32 a159, 0                                // 0000000057BC: D3D9409F 18000080
	v_mov_b32_e32 v227, 0                                      // 0000000057C4: 7FC60280
	v_mov_b32_e32 v156, 0                                      // 0000000057C8: 7F380280
	v_mov_b32_e32 v157, 0                                      // 0000000057CC: 7F3A0280
	v_mov_b32_e32 v158, 0                                      // 0000000057D0: 7F3C0280
	v_mov_b32_e32 v159, 0                                      // 0000000057D4: 7F3E0280
	v_mov_b32_e32 v160, 0                                      // 0000000057D8: 7F400280
	v_mov_b32_e32 v161, 0                                      // 0000000057DC: 7F420280
	v_mov_b32_e32 v162, 0                                      // 0000000057E0: 7F440280
	v_mov_b32_e32 v163, 0                                      // 0000000057E4: 7F460280
	v_mov_b32_e32 v148, 0                                      // 0000000057E8: 7F280280
	v_mov_b32_e32 v149, 0                                      // 0000000057EC: 7F2A0280
	v_mov_b32_e32 v150, 0                                      // 0000000057F0: 7F2C0280
	v_mov_b32_e32 v151, 0                                      // 0000000057F4: 7F2E0280
	v_mov_b32_e32 v152, 0                                      // 0000000057F8: 7F300280
	v_mov_b32_e32 v153, 0                                      // 0000000057FC: 7F320280
	v_mov_b32_e32 v154, 0                                      // 000000005800: 7F340280
	v_mov_b32_e32 v155, 0                                      // 000000005804: 7F360280
	s_waitcnt lgkmcnt(0)                                       // 000000005808: BF8CC07F
	s_barrier                                                  // 00000000580C: BF8A0000
	buffer_load_dword v36, v1, s[8:11], 0 idxen                // 000000005810: E0502000 80022401
	buffer_load_dword v37, v2, s[8:11], 0 idxen                // 000000005818: E0502000 80022502
	;; [unrolled: 1-line block ×4, first 2 shown]
	buffer_load_dword v44, v232, s[20:23], 0 idxen             // 000000005830: E0502000 80052CE8
	buffer_load_dword v45, v233, s[20:23], 0 idxen             // 000000005838: E0502000 80052DE9
	buffer_load_dword v46, v234, s[20:23], 0 idxen             // 000000005840: E0502000 80052EEA
	buffer_load_dword v47, v235, s[20:23], 0 idxen             // 000000005848: E0502000 80052FEB
	buffer_load_dword v11, s[24:27], 0 idxen lds               // 000000005850: E0512000 8006000B
	s_add_u32 s60, 0x60, s59                                   // 000000005858: 803C3BFF 00000060
	s_cmp_lt_u32 s60, s58                                      // 000000005860: BF0A3A3C
	s_cselect_b32 s68, s68, 0                                  // 000000005864: 85448044
	s_cselect_b32 s99, s99, 0                                  // 000000005868: 85638063
	s_cselect_b32 s69, s69, 0                                  // 00000000586C: 85458045
	s_mov_b32 m0, s81                                          // 000000005870: BEFC0051
	v_add_u32_e32 v11, s69, v11                                // 000000005874: 68161645
	v_add_u32_e32 v1, s68, v1                                  // 000000005878: 68020244
	v_add_u32_e32 v2, s68, v2                                  // 00000000587C: 68040444
	v_add_u32_e32 v3, s68, v3                                  // 000000005880: 68060644
	v_add_u32_e32 v4, s68, v4                                  // 000000005884: 68080844
	v_add_u32_e32 v232, s99, v232                              // 000000005888: 69D1D063
	v_add_u32_e32 v233, s99, v233                              // 00000000588C: 69D3D263
	v_add_u32_e32 v234, s99, v234                              // 000000005890: 69D5D463
	v_add_u32_e32 v235, s99, v235                              // 000000005894: 69D7D663
	v_mul_f32_e32 v140, s48, v140                              // 000000005898: 0B191830
	v_mul_f32_e32 v144, s48, v144                              // 00000000589C: 0B212030
	v_perm_b32 v100, v41, v40, s63                             // 0000000058A0: D1ED0064 00FE5129
	v_perm_b32 v101, v41, v40, s64                             // 0000000058A8: D1ED0065 01025129
	v_perm_b32 v102, v43, v42, s63                             // 0000000058B0: D1ED0066 00FE552B
	v_perm_b32 v103, v43, v42, s64                             // 0000000058B8: D1ED0067 0102552B
	v_perm_b32 v104, v49, v48, s63                             // 0000000058C0: D1ED0068 00FE6131
	v_perm_b32 v105, v49, v48, s64                             // 0000000058C8: D1ED0069 01026131
	v_perm_b32 v106, v51, v50, s63                             // 0000000058D0: D1ED006A 00FE6533
	v_perm_b32 v107, v51, v50, s64                             // 0000000058D8: D1ED006B 01026533
	v_mov_b32_dpp v143, v140 quad_perm:[3,3,3,3] row_mask:0xf bank_mask:0xf// 0000000058E0: 7F1E02FA FF00FF8C
	v_mov_b32_dpp v142, v140 quad_perm:[2,2,2,2] row_mask:0xf bank_mask:0xf// 0000000058E8: 7F1C02FA FF00AA8C
	v_mov_b32_dpp v141, v140 quad_perm:[1,1,1,1] row_mask:0xf bank_mask:0xf// 0000000058F0: 7F1A02FA FF00558C
	v_mov_b32_dpp v140, v140 quad_perm:[0,0,0,0] row_mask:0xf bank_mask:0xf// 0000000058F8: 7F1802FA FF00008C
	v_mov_b32_dpp v147, v144 quad_perm:[3,3,3,3] row_mask:0xf bank_mask:0xf// 000000005900: 7F2602FA FF00FF90
	v_mov_b32_dpp v146, v144 quad_perm:[2,2,2,2] row_mask:0xf bank_mask:0xf// 000000005908: 7F2402FA FF00AA90
	v_mov_b32_dpp v145, v144 quad_perm:[1,1,1,1] row_mask:0xf bank_mask:0xf// 000000005910: 7F2202FA FF005590
	v_mov_b32_dpp v144, v144 quad_perm:[0,0,0,0] row_mask:0xf bank_mask:0xf// 000000005918: 7F2002FA FF000090
	s_waitcnt vmcnt(9)                                         // 000000005920: BF8C0F79
	s_barrier                                                  // 000000005924: BF8A0000
	s_cmp_lt_i32 s46, 2                                        // 000000005928: BF04822E
	s_cbranch_scc0 label_0EB8                                  // 00000000592C: BF84085A
	s_nop 0                                                    // 000000005930: BF800000
	s_nop 0                                                    // 000000005934: BF800000

0000000000005938 <label_064E>:
	s_waitcnt lgkmcnt(0)                                       // 000000005938: BF8CC07F
	s_barrier                                                  // 00000000593C: BF8A0000
	v_mfma_f32_16x16x16_bf16 v[52:55], a[96:97], a[0:1], 0     // 000000005940: D3E10034 1A020160
	ds_write_b32 v13, v48 offset:8704                          // 000000005948: D81A2200 0000300D
	ds_write_b32 v13, v49 offset:9760                          // 000000005950: D81A2620 0000310D
	v_mfma_f32_16x16x16_bf16 v[52:55], a[98:99], a[2:3], v[52:55]// 000000005958: D3E10034 1CD20562
	v_mul_f32_e32 v148, s47, v148                              // 000000005960: 0B29282F
	v_mul_f32_e32 v149, s47, v149                              // 000000005964: 0B2B2A2F
	v_mfma_f32_16x16x16_bf16 v[52:55], a[100:101], a[4:5], v[52:55]// 000000005968: D3E10034 1CD20964
	ds_write_b32 v13, v50 offset:10880                         // 000000005970: D81A2A80 0000320D
	ds_write_b32 v13, v51 offset:11936                         // 000000005978: D81A2EA0 0000330D
	v_mfma_f32_16x16x16_bf16 v[52:55], a[102:103], a[6:7], v[52:55]// 000000005980: D3E10034 1CD20D66
	v_mul_f32_e32 v150, s47, v150                              // 000000005988: 0B2D2C2F
	v_mul_f32_e32 v151, s47, v151                              // 00000000598C: 0B2F2E2F
	v_mfma_f32_16x16x16_bf16 v[56:59], a[96:97], a[8:9], 0     // 000000005990: D3E10038 1A021160
	ds_write_b64 v22, v[148:149] offset:31232                  // 000000005998: D89A7A00 00009416
	v_mfma_f32_16x16x16_bf16 v[56:59], a[98:99], a[10:11], v[56:59]// 0000000059A0: D3E10038 1CE21562
	v_mul_f32_e32 v152, s47, v152                              // 0000000059A8: 0B31302F
	v_mul_f32_e32 v153, s47, v153                              // 0000000059AC: 0B33322F
	v_mfma_f32_16x16x16_bf16 v[56:59], a[100:101], a[12:13], v[56:59]// 0000000059B0: D3E10038 1CE21964
	ds_write_b64 v22, v[150:151] offset:31744                  // 0000000059B8: D89A7C00 00009616
	v_mfma_f32_16x16x16_bf16 v[56:59], a[102:103], a[14:15], v[56:59]// 0000000059C0: D3E10038 1CE21D66
	v_mul_f32_e32 v154, s47, v154                              // 0000000059C8: 0B35342F
	v_mul_f32_e32 v155, s47, v155                              // 0000000059CC: 0B37362F
	v_mfma_f32_16x16x16_bf16 v[60:63], a[96:97], a[16:17], 0   // 0000000059D0: D3E1003C 1A022160
	ds_write_b64 v22, v[152:153] offset:32256                  // 0000000059D8: D89A7E00 00009816
	v_mfma_f32_16x16x16_bf16 v[60:63], a[98:99], a[18:19], v[60:63]// 0000000059E0: D3E1003C 1CF22562
	buffer_atomic_add_f32 v160, v8, s[32:35], 0 idxen          // 0000000059E8: E1342000 8008A008
	v_mfma_f32_16x16x16_bf16 v[60:63], a[100:101], a[20:21], v[60:63]// 0000000059F0: D3E1003C 1CF22964
	ds_write_b64 v22, v[154:155] offset:32768                  // 0000000059F8: D89A8000 00009A16
	v_mfma_f32_16x16x16_bf16 v[60:63], a[102:103], a[22:23], v[60:63]// 000000005A00: D3E1003C 1CF22D66
	v_mfma_f32_16x16x16_bf16 v[64:67], a[104:105], a[0:1], 0   // 000000005A08: D3E10040 1A020168
	ds_read_b128 v[124:127], v14 offset:13056                  // 000000005A10: D9FE3300 7C00000E
	ds_write_b32 v13, v40                                      // 000000005A18: D81A0000 0000280D
	v_mfma_f32_16x16x16_bf16 v[64:67], a[106:107], a[2:3], v[64:67]// 000000005A20: D3E10040 1D02056A
	buffer_atomic_add_f32 v161, v9, s[32:35], 0 idxen          // 000000005A28: E1342000 8008A109
	v_mfma_f32_16x16x16_bf16 v[64:67], a[108:109], a[4:5], v[64:67]// 000000005A30: D3E10040 1D02096C
	v_mfma_f32_16x16x16_bf16 v[64:67], a[110:111], a[6:7], v[64:67]// 000000005A38: D3E10040 1D020D6E
	ds_read_b128 v[128:131], v14 offset:13568                  // 000000005A40: D9FE3500 8000000E
	ds_write_b32 v13, v41 offset:1056                          // 000000005A48: D81A0420 0000290D
	v_mfma_f32_16x16x16_bf16 v[68:71], a[104:105], a[8:9], 0   // 000000005A50: D3E10044 1A021168
	buffer_atomic_add_f32 v162, v8, s[32:35], 0 idxen offset:128// 000000005A58: E1342080 8008A208
	v_mfma_f32_16x16x16_bf16 v[68:71], a[106:107], a[10:11], v[68:71]// 000000005A60: D3E10044 1D12156A
	v_mfma_f32_16x16x16_bf16 v[68:71], a[108:109], a[12:13], v[68:71]// 000000005A68: D3E10044 1D12196C
	ds_read_b128 v[132:135], v14 offset:15232                  // 000000005A70: D9FE3B80 8400000E
	ds_write_b32 v13, v42 offset:2176                          // 000000005A78: D81A0880 00002A0D
	v_mfma_f32_16x16x16_bf16 v[68:71], a[110:111], a[14:15], v[68:71]// 000000005A80: D3E10044 1D121D6E
	v_mfma_f32_16x16x16_bf16 v[72:75], a[104:105], a[16:17], 0 // 000000005A88: D3E10048 1A022168
	buffer_atomic_add_f32 v163, v9, s[32:35], 0 idxen offset:128// 000000005A90: E1342080 8008A309
	v_mfma_f32_16x16x16_bf16 v[72:75], a[106:107], a[18:19], v[72:75]// 000000005A98: D3E10048 1D22256A
	ds_read_b128 v[136:139], v14 offset:15744                  // 000000005AA0: D9FE3D80 8800000E
	ds_write_b32 v13, v43 offset:3232                          // 000000005AA8: D81A0CA0 00002B0D
	v_mfma_f32_16x16x16_bf16 v[72:75], a[108:109], a[20:21], v[72:75]// 000000005AB0: D3E10048 1D22296C
	v_mfma_f32_16x16x16_bf16 v[72:75], a[110:111], a[22:23], v[72:75]// 000000005AB8: D3E10048 1D222D6E
	s_cmp_lt_i32 s74, 12                                       // 000000005AC0: BF048C4A
	s_cbranch_scc0 label_0798                                  // 000000005AC4: BF8400E6
	s_mov_b32 s60, 0xffe0fffe                                  // 000000005AC8: BEBC00FF FFE0FFFE
	s_mov_b32 s61, 0xe000fe00                                  // 000000005AD0: BEBD00FF E000FE00
	s_nop 0                                                    // 000000005AD8: BF800000
	s_add_u32 s62, 0, s46                                      // 000000005ADC: 803E2E80
	s_cmp_lt_i32 s74, s62                                      // 000000005AE0: BF043E4A
	s_cbranch_scc1 label_06E2                                  // 000000005AE4: BF850028
	s_cmp_eq_i32 s74, s62                                      // 000000005AE8: BF003E4A
	s_cbranch_scc1 label_06C7                                  // 000000005AEC: BF85000B
	s_add_u32 s62, 4, s46                                      // 000000005AF0: 803E2E84
	s_cmp_lt_i32 s74, s62                                      // 000000005AF4: BF043E4A
	s_cbranch_scc1 label_0702                                  // 000000005AF8: BF850043
	s_cmp_eq_i32 s74, s62                                      // 000000005AFC: BF003E4A
	s_cbranch_scc1 label_06E7                                  // 000000005B00: BF850026
	s_add_u32 s62, 8, s46                                      // 000000005B04: 803E2E88
	s_cmp_lt_i32 s74, s62                                      // 000000005B08: BF043E4A
	s_cbranch_scc1 label_0722                                  // 000000005B0C: BF85005E
	s_cmp_eq_i32 s74, s62                                      // 000000005B10: BF003E4A
	s_cbranch_scc1 label_0707                                  // 000000005B14: BF850041
	s_branch label_0727                                        // 000000005B18: BF820060

0000000000005b1c <label_06C7>:
	v_cndmask_b32_e64 v52, v52, v178, s[60:61]                 // 000000005B1C: D1000034 00F36534
	s_lshl_b32 s60, s60, 1                                     // 000000005B24: 8E3C813C
	s_lshl_b32 s61, s61, 1                                     // 000000005B28: 8E3D813D
	s_and_b32 s60, 0xfffeffff, s60                             // 000000005B2C: 863C3CFF FFFEFFFF
	s_and_b32 s61, 0xfffeffff, s61                             // 000000005B34: 863D3DFF FFFEFFFF
	v_cndmask_b32_e64 v53, v53, v178, s[60:61]                 // 000000005B3C: D1000035 00F36535
	s_lshl_b32 s60, s60, 1                                     // 000000005B44: 8E3C813C
	s_lshl_b32 s61, s61, 1                                     // 000000005B48: 8E3D813D
	s_and_b32 s60, 0xfffeffff, s60                             // 000000005B4C: 863C3CFF FFFEFFFF
	s_and_b32 s61, 0xfffeffff, s61                             // 000000005B54: 863D3DFF FFFEFFFF
	v_cndmask_b32_e64 v54, v54, v178, s[60:61]                 // 000000005B5C: D1000036 00F36536
	s_lshl_b32 s60, s60, 1                                     // 000000005B64: 8E3C813C
	s_lshl_b32 s61, s61, 1                                     // 000000005B68: 8E3D813D
	s_and_b32 s60, 0xfffeffff, s60                             // 000000005B6C: 863C3CFF FFFEFFFF
	s_and_b32 s61, 0xfffeffff, s61                             // 000000005B74: 863D3DFF FFFEFFFF
	v_cndmask_b32_e64 v55, v55, v178, s[60:61]                 // 000000005B7C: D1000037 00F36537
	s_branch label_0702                                        // 000000005B84: BF820020

0000000000005b88 <label_06E2>:
	v_mov_b32_e32 v52, v178                                    // 000000005B88: 7E6803B2
	v_mov_b32_e32 v53, v178                                    // 000000005B8C: 7E6A03B2
	v_mov_b32_e32 v54, v178                                    // 000000005B90: 7E6C03B2
	v_mov_b32_e32 v55, v178                                    // 000000005B94: 7E6E03B2
	s_branch label_0702                                        // 000000005B98: BF82001B

0000000000005b9c <label_06E7>:
	v_cndmask_b32_e64 v56, v56, v178, s[60:61]                 // 000000005B9C: D1000038 00F36538
	s_lshl_b32 s60, s60, 1                                     // 000000005BA4: 8E3C813C
	s_lshl_b32 s61, s61, 1                                     // 000000005BA8: 8E3D813D
	s_and_b32 s60, 0xfffeffff, s60                             // 000000005BAC: 863C3CFF FFFEFFFF
	s_and_b32 s61, 0xfffeffff, s61                             // 000000005BB4: 863D3DFF FFFEFFFF
	v_cndmask_b32_e64 v57, v57, v178, s[60:61]                 // 000000005BBC: D1000039 00F36539
	s_lshl_b32 s60, s60, 1                                     // 000000005BC4: 8E3C813C
	s_lshl_b32 s61, s61, 1                                     // 000000005BC8: 8E3D813D
	s_and_b32 s60, 0xfffeffff, s60                             // 000000005BCC: 863C3CFF FFFEFFFF
	s_and_b32 s61, 0xfffeffff, s61                             // 000000005BD4: 863D3DFF FFFEFFFF
	v_cndmask_b32_e64 v58, v58, v178, s[60:61]                 // 000000005BDC: D100003A 00F3653A
	s_lshl_b32 s60, s60, 1                                     // 000000005BE4: 8E3C813C
	s_lshl_b32 s61, s61, 1                                     // 000000005BE8: 8E3D813D
	s_and_b32 s60, 0xfffeffff, s60                             // 000000005BEC: 863C3CFF FFFEFFFF
	s_and_b32 s61, 0xfffeffff, s61                             // 000000005BF4: 863D3DFF FFFEFFFF
	v_cndmask_b32_e64 v59, v59, v178, s[60:61]                 // 000000005BFC: D100003B 00F3653B
	s_branch label_0722                                        // 000000005C04: BF820020

0000000000005c08 <label_0702>:
	v_mov_b32_e32 v56, v178                                    // 000000005C08: 7E7003B2
	v_mov_b32_e32 v57, v178                                    // 000000005C0C: 7E7203B2
	v_mov_b32_e32 v58, v178                                    // 000000005C10: 7E7403B2
	v_mov_b32_e32 v59, v178                                    // 000000005C14: 7E7603B2
	s_branch label_0722                                        // 000000005C18: BF82001B

0000000000005c1c <label_0707>:
	v_cndmask_b32_e64 v60, v60, v178, s[60:61]                 // 000000005C1C: D100003C 00F3653C
	s_lshl_b32 s60, s60, 1                                     // 000000005C24: 8E3C813C
	s_lshl_b32 s61, s61, 1                                     // 000000005C28: 8E3D813D
	s_and_b32 s60, 0xfffeffff, s60                             // 000000005C2C: 863C3CFF FFFEFFFF
	s_and_b32 s61, 0xfffeffff, s61                             // 000000005C34: 863D3DFF FFFEFFFF
	v_cndmask_b32_e64 v61, v61, v178, s[60:61]                 // 000000005C3C: D100003D 00F3653D
	s_lshl_b32 s60, s60, 1                                     // 000000005C44: 8E3C813C
	s_lshl_b32 s61, s61, 1                                     // 000000005C48: 8E3D813D
	s_and_b32 s60, 0xfffeffff, s60                             // 000000005C4C: 863C3CFF FFFEFFFF
	s_and_b32 s61, 0xfffeffff, s61                             // 000000005C54: 863D3DFF FFFEFFFF
	v_cndmask_b32_e64 v62, v62, v178, s[60:61]                 // 000000005C5C: D100003E 00F3653E
	s_lshl_b32 s60, s60, 1                                     // 000000005C64: 8E3C813C
	s_lshl_b32 s61, s61, 1                                     // 000000005C68: 8E3D813D
	s_and_b32 s60, 0xfffeffff, s60                             // 000000005C6C: 863C3CFF FFFEFFFF
	s_and_b32 s61, 0xfffeffff, s61                             // 000000005C74: 863D3DFF FFFEFFFF
	v_cndmask_b32_e64 v63, v63, v178, s[60:61]                 // 000000005C7C: D100003F 00F3653F
	s_branch label_0727                                        // 000000005C84: BF820005

0000000000005c88 <label_0722>:
	v_mov_b32_e32 v60, v178                                    // 000000005C88: 7E7803B2
	v_mov_b32_e32 v61, v178                                    // 000000005C8C: 7E7A03B2
	v_mov_b32_e32 v62, v178                                    // 000000005C90: 7E7C03B2
	v_mov_b32_e32 v63, v178                                    // 000000005C94: 7E7E03B2
	s_branch label_0727                                        // 000000005C98: BF820000

0000000000005c9c <label_0727>:
	s_addk_i32 s74, 0x1                                        // 000000005C9C: B74A0001
	s_add_u32 s62, 0, s46                                      // 000000005CA0: 803E2E80
	s_cmp_lt_i32 s74, s62                                      // 000000005CA4: BF043E4A
	s_cbranch_scc1 label_0753                                  // 000000005CA8: BF850028
	s_cmp_eq_i32 s74, s62                                      // 000000005CAC: BF003E4A
	s_cbranch_scc1 label_0738                                  // 000000005CB0: BF85000B
	s_add_u32 s62, 4, s46                                      // 000000005CB4: 803E2E84
	s_cmp_lt_i32 s74, s62                                      // 000000005CB8: BF043E4A
	s_cbranch_scc1 label_0773                                  // 000000005CBC: BF850043
	s_cmp_eq_i32 s74, s62                                      // 000000005CC0: BF003E4A
	s_cbranch_scc1 label_0758                                  // 000000005CC4: BF850026
	s_add_u32 s62, 8, s46                                      // 000000005CC8: 803E2E88
	s_cmp_lt_i32 s74, s62                                      // 000000005CCC: BF043E4A
	s_cbranch_scc1 label_0793                                  // 000000005CD0: BF85005E
	s_cmp_eq_i32 s74, s62                                      // 000000005CD4: BF003E4A
	s_cbranch_scc1 label_0778                                  // 000000005CD8: BF850041
	s_branch label_0798                                        // 000000005CDC: BF820060

0000000000005ce0 <label_0738>:
	v_cndmask_b32_e64 v64, v64, v178, s[60:61]                 // 000000005CE0: D1000040 00F36540
	s_lshl_b32 s60, s60, 1                                     // 000000005CE8: 8E3C813C
	s_lshl_b32 s61, s61, 1                                     // 000000005CEC: 8E3D813D
	s_and_b32 s60, 0xfffeffff, s60                             // 000000005CF0: 863C3CFF FFFEFFFF
	s_and_b32 s61, 0xfffeffff, s61                             // 000000005CF8: 863D3DFF FFFEFFFF
	v_cndmask_b32_e64 v65, v65, v178, s[60:61]                 // 000000005D00: D1000041 00F36541
	s_lshl_b32 s60, s60, 1                                     // 000000005D08: 8E3C813C
	s_lshl_b32 s61, s61, 1                                     // 000000005D0C: 8E3D813D
	s_and_b32 s60, 0xfffeffff, s60                             // 000000005D10: 863C3CFF FFFEFFFF
	s_and_b32 s61, 0xfffeffff, s61                             // 000000005D18: 863D3DFF FFFEFFFF
	v_cndmask_b32_e64 v66, v66, v178, s[60:61]                 // 000000005D20: D1000042 00F36542
	s_lshl_b32 s60, s60, 1                                     // 000000005D28: 8E3C813C
	s_lshl_b32 s61, s61, 1                                     // 000000005D2C: 8E3D813D
	s_and_b32 s60, 0xfffeffff, s60                             // 000000005D30: 863C3CFF FFFEFFFF
	s_and_b32 s61, 0xfffeffff, s61                             // 000000005D38: 863D3DFF FFFEFFFF
	v_cndmask_b32_e64 v67, v67, v178, s[60:61]                 // 000000005D40: D1000043 00F36543
	s_branch label_0773                                        // 000000005D48: BF820020

0000000000005d4c <label_0753>:
	v_mov_b32_e32 v64, v178                                    // 000000005D4C: 7E8003B2
	v_mov_b32_e32 v65, v178                                    // 000000005D50: 7E8203B2
	v_mov_b32_e32 v66, v178                                    // 000000005D54: 7E8403B2
	v_mov_b32_e32 v67, v178                                    // 000000005D58: 7E8603B2
	s_branch label_0773                                        // 000000005D5C: BF82001B

0000000000005d60 <label_0758>:
	v_cndmask_b32_e64 v68, v68, v178, s[60:61]                 // 000000005D60: D1000044 00F36544
	s_lshl_b32 s60, s60, 1                                     // 000000005D68: 8E3C813C
	s_lshl_b32 s61, s61, 1                                     // 000000005D6C: 8E3D813D
	s_and_b32 s60, 0xfffeffff, s60                             // 000000005D70: 863C3CFF FFFEFFFF
	s_and_b32 s61, 0xfffeffff, s61                             // 000000005D78: 863D3DFF FFFEFFFF
	v_cndmask_b32_e64 v69, v69, v178, s[60:61]                 // 000000005D80: D1000045 00F36545
	s_lshl_b32 s60, s60, 1                                     // 000000005D88: 8E3C813C
	s_lshl_b32 s61, s61, 1                                     // 000000005D8C: 8E3D813D
	s_and_b32 s60, 0xfffeffff, s60                             // 000000005D90: 863C3CFF FFFEFFFF
	s_and_b32 s61, 0xfffeffff, s61                             // 000000005D98: 863D3DFF FFFEFFFF
	v_cndmask_b32_e64 v70, v70, v178, s[60:61]                 // 000000005DA0: D1000046 00F36546
	s_lshl_b32 s60, s60, 1                                     // 000000005DA8: 8E3C813C
	s_lshl_b32 s61, s61, 1                                     // 000000005DAC: 8E3D813D
	s_and_b32 s60, 0xfffeffff, s60                             // 000000005DB0: 863C3CFF FFFEFFFF
	s_and_b32 s61, 0xfffeffff, s61                             // 000000005DB8: 863D3DFF FFFEFFFF
	v_cndmask_b32_e64 v71, v71, v178, s[60:61]                 // 000000005DC0: D1000047 00F36547
	s_branch label_0793                                        // 000000005DC8: BF820020

0000000000005dcc <label_0773>:
	v_mov_b32_e32 v68, v178                                    // 000000005DCC: 7E8803B2
	v_mov_b32_e32 v69, v178                                    // 000000005DD0: 7E8A03B2
	v_mov_b32_e32 v70, v178                                    // 000000005DD4: 7E8C03B2
	v_mov_b32_e32 v71, v178                                    // 000000005DD8: 7E8E03B2
	s_branch label_0793                                        // 000000005DDC: BF82001B

0000000000005de0 <label_0778>:
	v_cndmask_b32_e64 v72, v72, v178, s[60:61]                 // 000000005DE0: D1000048 00F36548
	s_lshl_b32 s60, s60, 1                                     // 000000005DE8: 8E3C813C
	s_lshl_b32 s61, s61, 1                                     // 000000005DEC: 8E3D813D
	s_and_b32 s60, 0xfffeffff, s60                             // 000000005DF0: 863C3CFF FFFEFFFF
	s_and_b32 s61, 0xfffeffff, s61                             // 000000005DF8: 863D3DFF FFFEFFFF
	v_cndmask_b32_e64 v73, v73, v178, s[60:61]                 // 000000005E00: D1000049 00F36549
	s_lshl_b32 s60, s60, 1                                     // 000000005E08: 8E3C813C
	s_lshl_b32 s61, s61, 1                                     // 000000005E0C: 8E3D813D
	s_and_b32 s60, 0xfffeffff, s60                             // 000000005E10: 863C3CFF FFFEFFFF
	s_and_b32 s61, 0xfffeffff, s61                             // 000000005E18: 863D3DFF FFFEFFFF
	v_cndmask_b32_e64 v74, v74, v178, s[60:61]                 // 000000005E20: D100004A 00F3654A
	s_lshl_b32 s60, s60, 1                                     // 000000005E28: 8E3C813C
	s_lshl_b32 s61, s61, 1                                     // 000000005E2C: 8E3D813D
	s_and_b32 s60, 0xfffeffff, s60                             // 000000005E30: 863C3CFF FFFEFFFF
	s_and_b32 s61, 0xfffeffff, s61                             // 000000005E38: 863D3DFF FFFEFFFF
	v_cndmask_b32_e64 v75, v75, v178, s[60:61]                 // 000000005E40: D100004B 00F3654B
	s_branch label_0798                                        // 000000005E48: BF820005

0000000000005e4c <label_0793>:
	v_mov_b32_e32 v72, v178                                    // 000000005E4C: 7E9003B2
	v_mov_b32_e32 v73, v178                                    // 000000005E50: 7E9203B2
	v_mov_b32_e32 v74, v178                                    // 000000005E54: 7E9403B2
	v_mov_b32_e32 v75, v178                                    // 000000005E58: 7E9603B2
	s_branch label_0798                                        // 000000005E5C: BF820000

0000000000005e60 <label_0798>:
	s_cmp_lt_i32 s101, 0xc0                                    // 000000005E60: BF04FF65 000000C0
	s_cbranch_scc0 label_0811                                  // 000000005E68: BF84006D
	s_cmp_le_i32 s101, 64                                      // 000000005E6C: BF05C065
	s_cbranch_scc1 label_07A4                                  // 000000005E70: BF850007
	s_cmp_le_i32 s101, 0x80                                    // 000000005E74: BF05FF65 00000080
	s_cbranch_scc1 label_07C8                                  // 000000005E7C: BF85001F
	s_cmp_lt_i32 s101, 0xc0                                    // 000000005E80: BF04FF65 000000C0
	s_cbranch_scc1 label_07EC                                  // 000000005E88: BF850040
	s_branch label_0811                                        // 000000005E8C: BF820064

0000000000005e90 <label_07A4>:
	s_mov_b32 s60, 0                                           // 000000005E90: BEBC0080
	v_and_b32_e32 v32, 15, v0                                  // 000000005E94: 2640008F
	v_add_u32_e64 v32, v32, s60                                // 000000005E98: D1340020 00007920
	v_mul_i32_i24_e64 v33, s46, 16                             // 000000005EA0: D1060021 0001202E
	v_add_u32_e32 v32, v32, v33                                // 000000005EA8: 68404320
	v_cmp_lt_u32_e64 s[60:61], v32, s101                       // 000000005EAC: D0C9003C 0000CB20
	s_nop 1                                                    // 000000005EB4: BF800001
	v_cndmask_b32_e64 v52, v178, v52, s[60:61]                 // 000000005EB8: D1000034 00F269B2
	v_cndmask_b32_e64 v64, v178, v64, s[60:61]                 // 000000005EC0: D1000040 00F281B2
	v_cndmask_b32_e64 v53, v178, v53, s[60:61]                 // 000000005EC8: D1000035 00F26BB2
	v_cndmask_b32_e64 v65, v178, v65, s[60:61]                 // 000000005ED0: D1000041 00F283B2
	v_cndmask_b32_e64 v54, v178, v54, s[60:61]                 // 000000005ED8: D1000036 00F26DB2
	v_cndmask_b32_e64 v66, v178, v66, s[60:61]                 // 000000005EE0: D1000042 00F285B2
	v_cndmask_b32_e64 v55, v178, v55, s[60:61]                 // 000000005EE8: D1000037 00F26FB2
	v_cndmask_b32_e64 v67, v178, v67, s[60:61]                 // 000000005EF0: D1000043 00F287B2
	s_branch label_07E3                                        // 000000005EF8: BF82001B

0000000000005efc <label_07C8>:
	s_mov_b32 s60, 64                                          // 000000005EFC: BEBC00C0
	v_and_b32_e32 v32, 15, v0                                  // 000000005F00: 2640008F
	v_add_u32_e64 v32, v32, s60                                // 000000005F04: D1340020 00007920
	v_mul_i32_i24_e64 v33, s46, 16                             // 000000005F0C: D1060021 0001202E
	v_add_u32_e32 v32, v32, v33                                // 000000005F14: 68404320
	v_cmp_lt_u32_e64 s[60:61], v32, s101                       // 000000005F18: D0C9003C 0000CB20
	s_nop 1                                                    // 000000005F20: BF800001
	v_cndmask_b32_e64 v56, v178, v56, s[60:61]                 // 000000005F24: D1000038 00F271B2
	v_cndmask_b32_e64 v68, v178, v68, s[60:61]                 // 000000005F2C: D1000044 00F289B2
	v_cndmask_b32_e64 v57, v178, v57, s[60:61]                 // 000000005F34: D1000039 00F273B2
	v_cndmask_b32_e64 v69, v178, v69, s[60:61]                 // 000000005F3C: D1000045 00F28BB2
	v_cndmask_b32_e64 v58, v178, v58, s[60:61]                 // 000000005F44: D100003A 00F275B2
	v_cndmask_b32_e64 v70, v178, v70, s[60:61]                 // 000000005F4C: D1000046 00F28DB2
	v_cndmask_b32_e64 v59, v178, v59, s[60:61]                 // 000000005F54: D100003B 00F277B2
	v_cndmask_b32_e64 v71, v178, v71, s[60:61]                 // 000000005F5C: D1000047 00F28FB2
	s_branch label_0808                                        // 000000005F64: BF820025

0000000000005f68 <label_07E3>:
	v_mov_b32_e32 v56, v178                                    // 000000005F68: 7E7003B2
	v_mov_b32_e32 v68, v178                                    // 000000005F6C: 7E8803B2
	v_mov_b32_e32 v57, v178                                    // 000000005F70: 7E7203B2
	v_mov_b32_e32 v69, v178                                    // 000000005F74: 7E8A03B2
	v_mov_b32_e32 v58, v178                                    // 000000005F78: 7E7403B2
	v_mov_b32_e32 v70, v178                                    // 000000005F7C: 7E8C03B2
	v_mov_b32_e32 v59, v178                                    // 000000005F80: 7E7603B2
	v_mov_b32_e32 v71, v178                                    // 000000005F84: 7E8E03B2
	s_branch label_0808                                        // 000000005F88: BF82001C

0000000000005f8c <label_07EC>:
	s_mov_b32 s60, 0x80                                        // 000000005F8C: BEBC00FF 00000080
	v_and_b32_e32 v32, 15, v0                                  // 000000005F94: 2640008F
	v_add_u32_e64 v32, v32, s60                                // 000000005F98: D1340020 00007920
	v_mul_i32_i24_e64 v33, s46, 16                             // 000000005FA0: D1060021 0001202E
	v_add_u32_e32 v32, v32, v33                                // 000000005FA8: 68404320
	v_cmp_lt_u32_e64 s[60:61], v32, s101                       // 000000005FAC: D0C9003C 0000CB20
	s_nop 1                                                    // 000000005FB4: BF800001
	v_cndmask_b32_e64 v60, v178, v60, s[60:61]                 // 000000005FB8: D100003C 00F279B2
	v_cndmask_b32_e64 v72, v178, v72, s[60:61]                 // 000000005FC0: D1000048 00F291B2
	v_cndmask_b32_e64 v61, v178, v61, s[60:61]                 // 000000005FC8: D100003D 00F27BB2
	v_cndmask_b32_e64 v73, v178, v73, s[60:61]                 // 000000005FD0: D1000049 00F293B2
	v_cndmask_b32_e64 v62, v178, v62, s[60:61]                 // 000000005FD8: D100003E 00F27DB2
	v_cndmask_b32_e64 v74, v178, v74, s[60:61]                 // 000000005FE0: D100004A 00F295B2
	v_cndmask_b32_e64 v63, v178, v63, s[60:61]                 // 000000005FE8: D100003F 00F27FB2
	v_cndmask_b32_e64 v75, v178, v75, s[60:61]                 // 000000005FF0: D100004B 00F297B2
	s_branch label_0811                                        // 000000005FF8: BF820009

0000000000005ffc <label_0808>:
	v_mov_b32_e32 v60, v178                                    // 000000005FFC: 7E7803B2
	v_mov_b32_e32 v72, v178                                    // 000000006000: 7E9003B2
	v_mov_b32_e32 v61, v178                                    // 000000006004: 7E7A03B2
	v_mov_b32_e32 v73, v178                                    // 000000006008: 7E9203B2
	v_mov_b32_e32 v62, v178                                    // 00000000600C: 7E7C03B2
	v_mov_b32_e32 v74, v178                                    // 000000006010: 7E9403B2
	v_mov_b32_e32 v63, v178                                    // 000000006014: 7E7E03B2
	v_mov_b32_e32 v75, v178                                    // 000000006018: 7E9603B2
	s_branch label_0811                                        // 00000000601C: BF820000

0000000000006020 <label_0811>:
	s_addk_i32 s74, 0x1                                        // 000000006020: B74A0001
	s_waitcnt lgkmcnt(8)                                       // 000000006024: BF8CC87F
	s_barrier                                                  // 000000006028: BF8A0000
	v_mfma_f32_16x16x16_bf16 v[76:79], v[108:109], a[72:73], 0 // 00000000602C: D3E1004C 1202916C
	ds_read_b128 a[96:99], v14 offset:4352                     // 000000006034: DBFE1100 6000000E
	ds_read_b128 a[100:103], v14 offset:4864                   // 00000000603C: DBFE1300 6400000E
	v_mfma_f32_16x16x16_bf16 v[76:79], v[110:111], a[74:75], v[76:79]// 000000006044: D3E1004C 1532956E
	v_fma_f32 v52, v52, s57, -v140                             // 00000000604C: D1CB0034 86307334
	v_fma_f32 v53, v53, s57, -v141                             // 000000006054: D1CB0035 86347335
	v_fma_f32 v54, v54, s57, -v142                             // 00000000605C: D1CB0036 86387336
	v_fma_f32 v55, v55, s57, -v143                             // 000000006064: D1CB0037 863C7337
	v_fma_f32 v56, v56, s57, -v140                             // 00000000606C: D1CB0038 86307338
	v_fma_f32 v57, v57, s57, -v141                             // 000000006074: D1CB0039 86347339
	v_mfma_f32_16x16x16_bf16 v[76:79], v[112:113], a[76:77], v[76:79]// 00000000607C: D3E1004C 15329970
	v_fma_f32 v58, v58, s57, -v142                             // 000000006084: D1CB003A 8638733A
	v_fma_f32 v59, v59, s57, -v143                             // 00000000608C: D1CB003B 863C733B
	v_fma_f32 v60, v60, s57, -v140                             // 000000006094: D1CB003C 8630733C
	v_fma_f32 v61, v61, s57, -v141                             // 00000000609C: D1CB003D 8634733D
	v_fma_f32 v62, v62, s57, -v142                             // 0000000060A4: D1CB003E 8638733E
	v_fma_f32 v63, v63, s57, -v143                             // 0000000060AC: D1CB003F 863C733F
	v_mfma_f32_16x16x16_bf16 v[76:79], v[114:115], a[78:79], v[76:79]// 0000000060B4: D3E1004C 15329D72
	v_fma_f32 v64, v64, s57, -v144                             // 0000000060BC: D1CB0040 86407340
	v_fma_f32 v65, v65, s57, -v145                             // 0000000060C4: D1CB0041 86447341
	v_fma_f32 v66, v66, s57, -v146                             // 0000000060CC: D1CB0042 86487342
	v_fma_f32 v67, v67, s57, -v147                             // 0000000060D4: D1CB0043 864C7343
	v_fma_f32 v68, v68, s57, -v144                             // 0000000060DC: D1CB0044 86407344
	v_fma_f32 v69, v69, s57, -v145                             // 0000000060E4: D1CB0045 86447345
	v_mfma_f32_16x16x16_bf16 v[80:83], v[108:109], a[80:81], 0 // 0000000060EC: D3E10050 1202A16C
	ds_read_b128 a[104:107], v14 offset:6528                   // 0000000060F4: DBFE1980 6800000E
	ds_read_b128 a[108:111], v14 offset:7040                   // 0000000060FC: DBFE1B80 6C00000E
	v_mfma_f32_16x16x16_bf16 v[80:83], v[110:111], a[82:83], v[80:83]// 000000006104: D3E10050 1542A56E
	v_fma_f32 v70, v70, s57, -v146                             // 00000000610C: D1CB0046 86487346
	v_fma_f32 v71, v71, s57, -v147                             // 000000006114: D1CB0047 864C7347
	v_fma_f32 v72, v72, s57, -v144                             // 00000000611C: D1CB0048 86407348
	v_fma_f32 v73, v73, s57, -v145                             // 000000006124: D1CB0049 86447349
	v_fma_f32 v74, v74, s57, -v146                             // 00000000612C: D1CB004A 8648734A
	v_fma_f32 v75, v75, s57, -v147                             // 000000006134: D1CB004B 864C734B
	v_mfma_f32_16x16x16_bf16 v[80:83], v[112:113], a[84:85], v[80:83]// 00000000613C: D3E10050 1542A970
	v_exp_f32_e32 v52, v52                                     // 000000006144: 7E684134
	v_exp_f32_e32 v53, v53                                     // 000000006148: 7E6A4135
	v_mfma_f32_16x16x16_bf16 v[80:83], v[114:115], a[86:87], v[80:83]// 00000000614C: D3E10050 1542AD72
	v_exp_f32_e32 v54, v54                                     // 000000006154: 7E6C4136
	v_exp_f32_e32 v55, v55                                     // 000000006158: 7E6E4137
	v_mfma_f32_16x16x16_bf16 v[84:87], v[108:109], a[88:89], 0 // 00000000615C: D3E10054 1202B16C
	ds_read_b64 v[156:157], v21 offset:31232                   // 000000006164: D8EC7A00 9C000015
	ds_read_b64 v[158:159], v21 offset:33280                   // 00000000616C: D8EC8200 9E000015
	v_mfma_f32_16x16x16_bf16 v[84:87], v[110:111], a[90:91], v[84:87]// 000000006174: D3E10054 1552B56E
	v_exp_f32_e32 v56, v56                                     // 00000000617C: 7E704138
	v_exp_f32_e32 v57, v57                                     // 000000006180: 7E724139
	v_mfma_f32_16x16x16_bf16 v[84:87], v[112:113], a[92:93], v[84:87]// 000000006184: D3E10054 1552B970
	ds_read_b64 v[160:161], v21 offset:35328                   // 00000000618C: D8EC8A00 A0000015
	ds_read_b64 v[162:163], v21 offset:37376                   // 000000006194: D8EC9200 A2000015
	v_mfma_f32_16x16x16_bf16 v[84:87], v[114:115], a[94:95], v[84:87]// 00000000619C: D3E10054 1552BD72
	v_exp_f32_e32 v58, v58                                     // 0000000061A4: 7E74413A
	v_exp_f32_e32 v59, v59                                     // 0000000061A8: 7E76413B
	v_mfma_f32_16x16x16_bf16 v[88:91], v[116:117], a[72:73], 0 // 0000000061AC: D3E10058 12029174
	v_exp_f32_e32 v60, v60                                     // 0000000061B4: 7E78413C
	v_exp_f32_e32 v61, v61                                     // 0000000061B8: 7E7A413D
	v_mfma_f32_16x16x16_bf16 v[88:91], v[118:119], a[74:75], v[88:91]// 0000000061BC: D3E10058 15629576
	v_exp_f32_e32 v62, v62                                     // 0000000061C4: 7E7C413E
	v_exp_f32_e32 v63, v63                                     // 0000000061C8: 7E7E413F
	v_mfma_f32_16x16x16_bf16 v[88:91], v[120:121], a[76:77], v[88:91]// 0000000061CC: D3E10058 15629978
	v_exp_f32_e32 v64, v64                                     // 0000000061D4: 7E804140
	v_exp_f32_e32 v65, v65                                     // 0000000061D8: 7E824141
	v_mfma_f32_16x16x16_bf16 v[88:91], v[122:123], a[78:79], v[88:91]// 0000000061DC: D3E10058 15629D7A
	v_exp_f32_e32 v66, v66                                     // 0000000061E4: 7E844142
	v_exp_f32_e32 v67, v67                                     // 0000000061E8: 7E864143
	v_mfma_f32_16x16x16_bf16 v[92:95], v[116:117], a[80:81], 0 // 0000000061EC: D3E1005C 1202A174
	v_exp_f32_e32 v68, v68                                     // 0000000061F4: 7E884144
	v_exp_f32_e32 v69, v69                                     // 0000000061F8: 7E8A4145
	v_mfma_f32_16x16x16_bf16 v[92:95], v[118:119], a[82:83], v[92:95]// 0000000061FC: D3E1005C 1572A576
	v_exp_f32_e32 v70, v70                                     // 000000006204: 7E8C4146
	v_exp_f32_e32 v71, v71                                     // 000000006208: 7E8E4147
	v_mfma_f32_16x16x16_bf16 v[92:95], v[120:121], a[84:85], v[92:95]// 00000000620C: D3E1005C 1572A978
	v_exp_f32_e32 v72, v72                                     // 000000006214: 7E904148
	v_exp_f32_e32 v73, v73                                     // 000000006218: 7E924149
	v_mfma_f32_16x16x16_bf16 v[92:95], v[122:123], a[86:87], v[92:95]// 00000000621C: D3E1005C 1572AD7A
	v_exp_f32_e32 v74, v74                                     // 000000006224: 7E94414A
	v_exp_f32_e32 v75, v75                                     // 000000006228: 7E96414B
	v_mfma_f32_16x16x16_bf16 v[96:99], v[116:117], a[88:89], 0 // 00000000622C: D3E10060 1202B174
	v_perm_b32 v164, v53, v52, s64                             // 000000006234: D1ED00A4 01026935
	v_perm_b32 v165, v55, v54, s64                             // 00000000623C: D1ED00A5 01026D37
	v_perm_b32 v166, v57, v56, s64                             // 000000006244: D1ED00A6 01027139
	v_perm_b32 v167, v59, v58, s64                             // 00000000624C: D1ED00A7 0102753B
	v_perm_b32 v168, v61, v60, s64                             // 000000006254: D1ED00A8 0102793D
	v_perm_b32 v169, v63, v62, s64                             // 00000000625C: D1ED00A9 01027D3F
	v_mfma_f32_16x16x16_bf16 v[96:99], v[118:119], a[90:91], v[96:99]// 000000006264: D3E10060 1582B576
	v_perm_b32 v170, v65, v64, s64                             // 00000000626C: D1ED00AA 01028141
	v_perm_b32 v171, v67, v66, s64                             // 000000006274: D1ED00AB 01028543
	v_perm_b32 v172, v69, v68, s64                             // 00000000627C: D1ED00AC 01028945
	v_perm_b32 v173, v71, v70, s64                             // 000000006284: D1ED00AD 01028D47
	v_perm_b32 v174, v73, v72, s64                             // 00000000628C: D1ED00AE 01029149
	v_perm_b32 v175, v75, v74, s64                             // 000000006294: D1ED00AF 0102954B
	v_mfma_f32_16x16x16_bf16 v[96:99], v[120:121], a[92:93], v[96:99]// 00000000629C: D3E10060 1582B978
	v_add_u32_e32 v6, s66, v6                                  // 0000000062A4: 680C0C42
	v_add_u32_e32 v7, s66, v7                                  // 0000000062A8: 680E0E42
	v_add_u32_e32 v8, s66, v8                                  // 0000000062AC: 68101042
	v_add_u32_e32 v9, s66, v9                                  // 0000000062B0: 68121242
	v_mfma_f32_16x16x16_bf16 v[96:99], v[122:123], a[94:95], v[96:99]// 0000000062B4: D3E10060 1582BD7A
	s_waitcnt lgkmcnt(0)                                       // 0000000062BC: BF8CC07F
	s_barrier                                                  // 0000000062C0: BF8A0000
	v_mfma_f32_16x16x16_bf16 v[180:183], v[124:125], v[164:165], v[180:183]// 0000000062C4: D3E100B4 06D3497C
	v_subrev_f32_dpp v76, v176, v76 quad_perm:[0,0,0,0] row_mask:0xf bank_mask:0xf// 0000000062CC: 069898FA FF0000B0
	v_subrev_f32_dpp v77, v176, v77 quad_perm:[1,1,1,1] row_mask:0xf bank_mask:0xf// 0000000062D4: 069A9AFA FF0055B0
	v_subrev_f32_dpp v78, v176, v78 quad_perm:[2,2,2,2] row_mask:0xf bank_mask:0xf// 0000000062DC: 069C9CFA FF00AAB0
	v_subrev_f32_dpp v79, v176, v79 quad_perm:[3,3,3,3] row_mask:0xf bank_mask:0xf// 0000000062E4: 069E9EFA FF00FFB0
	v_subrev_f32_dpp v80, v176, v80 quad_perm:[0,0,0,0] row_mask:0xf bank_mask:0xf// 0000000062EC: 06A0A0FA FF0000B0
	v_subrev_f32_dpp v81, v176, v81 quad_perm:[1,1,1,1] row_mask:0xf bank_mask:0xf// 0000000062F4: 06A2A2FA FF0055B0
	v_mfma_f32_16x16x16_bf16 v[184:187], v[126:127], v[164:165], v[184:187]// 0000000062FC: D3E100B8 06E3497E
	v_subrev_f32_dpp v82, v176, v82 quad_perm:[2,2,2,2] row_mask:0xf bank_mask:0xf// 000000006304: 06A4A4FA FF00AAB0
	v_subrev_f32_dpp v83, v176, v83 quad_perm:[3,3,3,3] row_mask:0xf bank_mask:0xf// 00000000630C: 06A6A6FA FF00FFB0
	v_subrev_f32_dpp v84, v176, v84 quad_perm:[0,0,0,0] row_mask:0xf bank_mask:0xf// 000000006314: 06A8A8FA FF0000B0
	v_subrev_f32_dpp v85, v176, v85 quad_perm:[1,1,1,1] row_mask:0xf bank_mask:0xf// 00000000631C: 06AAAAFA FF0055B0
	v_subrev_f32_dpp v86, v176, v86 quad_perm:[2,2,2,2] row_mask:0xf bank_mask:0xf// 000000006324: 06ACACFA FF00AAB0
	v_subrev_f32_dpp v87, v176, v87 quad_perm:[3,3,3,3] row_mask:0xf bank_mask:0xf// 00000000632C: 06AEAEFA FF00FFB0
	v_mfma_f32_16x16x16_bf16 v[188:191], v[128:129], v[164:165], v[188:191]// 000000006334: D3E100BC 06F34980
	v_mul_f32_e32 v76, v52, v76                                // 00000000633C: 0A989934
	v_mul_f32_e32 v77, v53, v77                                // 000000006340: 0A9A9B35
	v_mul_f32_e32 v78, v54, v78                                // 000000006344: 0A9C9D36
	v_mul_f32_e32 v79, v55, v79                                // 000000006348: 0A9E9F37
	v_mul_f32_e32 v80, v56, v80                                // 00000000634C: 0AA0A138
	v_mul_f32_e32 v81, v57, v81                                // 000000006350: 0AA2A339
	v_mfma_f32_16x16x16_bf16 v[192:195], v[130:131], v[164:165], v[192:195]// 000000006354: D3E100C0 07034982
	v_mul_f32_e32 v82, v58, v82                                // 00000000635C: 0AA4A53A
	v_mul_f32_e32 v83, v59, v83                                // 000000006360: 0AA6A73B
	v_mul_f32_e32 v84, v60, v84                                // 000000006364: 0AA8A93C
	v_mul_f32_e32 v85, v61, v85                                // 000000006368: 0AAAAB3D
	v_mul_f32_e32 v86, v62, v86                                // 00000000636C: 0AACAD3E
	v_mul_f32_e32 v87, v63, v87                                // 000000006370: 0AAEAF3F
	v_mfma_f32_16x16x16_bf16 v[196:199], v[124:125], v[166:167], v[196:199]// 000000006374: D3E100C4 07134D7C
	v_perm_b32 v76, v77, v76, s64                              // 00000000637C: D1ED004C 0102994D
	v_perm_b32 v77, v79, v78, s64                              // 000000006384: D1ED004D 01029D4F
	v_perm_b32 v78, v81, v80, s64                              // 00000000638C: D1ED004E 0102A151
	v_perm_b32 v79, v83, v82, s64                              // 000000006394: D1ED004F 0102A553
	v_perm_b32 v80, v85, v84, s64                              // 00000000639C: D1ED0050 0102A955
	v_perm_b32 v81, v87, v86, s64                              // 0000000063A4: D1ED0051 0102AD57
	v_mfma_f32_16x16x16_bf16 v[200:203], v[126:127], v[166:167], v[200:203]// 0000000063AC: D3E100C8 07234D7E
	v_mov_b32_dpp v18, v76 quad_perm:[1,0,3,2] row_mask:0xf bank_mask:0xf// 0000000063B4: 7E2402FA FF00B14C
	v_perm_b32 v52, v18, v76, v17                              // 0000000063BC: D1ED0034 04469912
	v_mov_b32_dpp v18, v77 quad_perm:[1,0,3,2] row_mask:0xf bank_mask:0xf// 0000000063C4: 7E2402FA FF00B14D
	v_perm_b32 v53, v18, v77, v17                              // 0000000063CC: D1ED0035 04469B12
	v_mov_b32_dpp v18, v78 quad_perm:[1,0,3,2] row_mask:0xf bank_mask:0xf// 0000000063D4: 7E2402FA FF00B14E
	v_perm_b32 v54, v18, v78, v17                              // 0000000063DC: D1ED0036 04469D12
	v_mfma_f32_16x16x16_bf16 v[204:207], v[128:129], v[166:167], v[204:207]// 0000000063E4: D3E100CC 07334D80
	v_mov_b32_dpp v18, v79 quad_perm:[1,0,3,2] row_mask:0xf bank_mask:0xf// 0000000063EC: 7E2402FA FF00B14F
	v_perm_b32 v55, v18, v79, v17                              // 0000000063F4: D1ED0037 04469F12
	v_mov_b32_dpp v18, v80 quad_perm:[1,0,3,2] row_mask:0xf bank_mask:0xf// 0000000063FC: 7E2402FA FF00B150
	v_perm_b32 v56, v18, v80, v17                              // 000000006404: D1ED0038 0446A112
	v_mov_b32_dpp v18, v81 quad_perm:[1,0,3,2] row_mask:0xf bank_mask:0xf// 00000000640C: 7E2402FA FF00B151
	v_perm_b32 v57, v18, v81, v17                              // 000000006414: D1ED0039 0446A312
	v_mfma_f32_16x16x16_bf16 v[208:211], v[130:131], v[166:167], v[208:211]// 00000000641C: D3E100D0 07434D82
	ds_write_b32 v20, v52 offset:17408                         // 000000006424: D81A4400 00003414
	ds_write_b32 v20, v53 offset:17952                         // 00000000642C: D81A4620 00003514
	v_mfma_f32_16x16x16_bf16 v[212:215], v[124:125], v[168:169], v[212:215]// 000000006434: D3E100D4 0753517C
	v_subrev_f32_dpp v88, v177, v88 quad_perm:[0,0,0,0] row_mask:0xf bank_mask:0xf// 00000000643C: 06B0B0FA FF0000B1
	v_subrev_f32_dpp v89, v177, v89 quad_perm:[1,1,1,1] row_mask:0xf bank_mask:0xf// 000000006444: 06B2B2FA FF0055B1
	v_subrev_f32_dpp v90, v177, v90 quad_perm:[2,2,2,2] row_mask:0xf bank_mask:0xf// 00000000644C: 06B4B4FA FF00AAB1
	v_subrev_f32_dpp v91, v177, v91 quad_perm:[3,3,3,3] row_mask:0xf bank_mask:0xf// 000000006454: 06B6B6FA FF00FFB1
	v_subrev_f32_dpp v92, v177, v92 quad_perm:[0,0,0,0] row_mask:0xf bank_mask:0xf// 00000000645C: 06B8B8FA FF0000B1
	v_subrev_f32_dpp v93, v177, v93 quad_perm:[1,1,1,1] row_mask:0xf bank_mask:0xf// 000000006464: 06BABAFA FF0055B1
	v_mfma_f32_16x16x16_bf16 v[216:219], v[126:127], v[168:169], v[216:219]// 00000000646C: D3E100D8 0763517E
	ds_write_b32 v20, v54 offset:19712                         // 000000006474: D81A4D00 00003614
	ds_write_b32 v20, v55 offset:20256                         // 00000000647C: D81A4F20 00003714
	v_mfma_f32_16x16x16_bf16 v[220:223], v[128:129], v[168:169], v[220:223]// 000000006484: D3E100DC 07735180
	v_subrev_f32_dpp v94, v177, v94 quad_perm:[2,2,2,2] row_mask:0xf bank_mask:0xf// 00000000648C: 06BCBCFA FF00AAB1
	v_subrev_f32_dpp v95, v177, v95 quad_perm:[3,3,3,3] row_mask:0xf bank_mask:0xf// 000000006494: 06BEBEFA FF00FFB1
	v_subrev_f32_dpp v96, v177, v96 quad_perm:[0,0,0,0] row_mask:0xf bank_mask:0xf// 00000000649C: 06C0C0FA FF0000B1
	v_subrev_f32_dpp v97, v177, v97 quad_perm:[1,1,1,1] row_mask:0xf bank_mask:0xf// 0000000064A4: 06C2C2FA FF0055B1
	v_subrev_f32_dpp v98, v177, v98 quad_perm:[2,2,2,2] row_mask:0xf bank_mask:0xf// 0000000064AC: 06C4C4FA FF00AAB1
	v_subrev_f32_dpp v99, v177, v99 quad_perm:[3,3,3,3] row_mask:0xf bank_mask:0xf// 0000000064B4: 06C6C6FA FF00FFB1
	v_mfma_f32_16x16x16_bf16 v[224:227], v[130:131], v[168:169], v[224:227]// 0000000064BC: D3E100E0 07835182
	ds_write_b32 v20, v56 offset:22016                         // 0000000064C4: D81A5600 00003814
	ds_write_b32 v20, v57 offset:22560                         // 0000000064CC: D81A5820 00003914
	v_mfma_f32_16x16x16_bf16 v[180:183], v[132:133], v[170:171], v[180:183]// 0000000064D4: D3E100B4 06D35584
	v_mul_f32_e32 v88, v64, v88                                // 0000000064DC: 0AB0B140
	v_mul_f32_e32 v89, v65, v89                                // 0000000064E0: 0AB2B341
	v_mul_f32_e32 v90, v66, v90                                // 0000000064E4: 0AB4B542
	v_mul_f32_e32 v91, v67, v91                                // 0000000064E8: 0AB6B743
	v_mul_f32_e32 v92, v68, v92                                // 0000000064EC: 0AB8B944
	v_mul_f32_e32 v93, v69, v93                                // 0000000064F0: 0ABABB45
	v_mfma_f32_16x16x16_bf16 v[184:187], v[134:135], v[170:171], v[184:187]// 0000000064F4: D3E100B8 06E35586
	v_mul_f32_e32 v94, v70, v94                                // 0000000064FC: 0ABCBD46
	v_mul_f32_e32 v95, v71, v95                                // 000000006500: 0ABEBF47
	v_mul_f32_e32 v96, v72, v96                                // 000000006504: 0AC0C148
	v_mul_f32_e32 v97, v73, v97                                // 000000006508: 0AC2C349
	v_mul_f32_e32 v98, v74, v98                                // 00000000650C: 0AC4C54A
	v_mul_f32_e32 v99, v75, v99                                // 000000006510: 0AC6C74B
	v_mfma_f32_16x16x16_bf16 v[188:191], v[136:137], v[170:171], v[188:191]// 000000006514: D3E100BC 06F35588
	v_perm_b32 v82, v89, v88, s64                              // 00000000651C: D1ED0052 0102B159
	v_perm_b32 v83, v91, v90, s64                              // 000000006524: D1ED0053 0102B55B
	v_perm_b32 v84, v93, v92, s64                              // 00000000652C: D1ED0054 0102B95D
	v_perm_b32 v85, v95, v94, s64                              // 000000006534: D1ED0055 0102BD5F
	v_perm_b32 v86, v97, v96, s64                              // 00000000653C: D1ED0056 0102C161
	v_perm_b32 v87, v99, v98, s64                              // 000000006544: D1ED0057 0102C563
	v_mfma_f32_16x16x16_bf16 v[192:195], v[138:139], v[170:171], v[192:195]// 00000000654C: D3E100C0 0703558A
	v_mov_b32_dpp v18, v82 quad_perm:[1,0,3,2] row_mask:0xf bank_mask:0xf// 000000006554: 7E2402FA FF00B152
	v_perm_b32 v58, v18, v82, v17                              // 00000000655C: D1ED003A 0446A512
	v_mov_b32_dpp v18, v83 quad_perm:[1,0,3,2] row_mask:0xf bank_mask:0xf// 000000006564: 7E2402FA FF00B153
	v_perm_b32 v59, v18, v83, v17                              // 00000000656C: D1ED003B 0446A712
	v_mov_b32_dpp v18, v84 quad_perm:[1,0,3,2] row_mask:0xf bank_mask:0xf// 000000006574: 7E2402FA FF00B154
	v_perm_b32 v60, v18, v84, v17                              // 00000000657C: D1ED003C 0446A912
	v_mfma_f32_16x16x16_bf16 v[196:199], v[132:133], v[172:173], v[196:199]// 000000006584: D3E100C4 07135984
	v_mov_b32_dpp v18, v85 quad_perm:[1,0,3,2] row_mask:0xf bank_mask:0xf// 00000000658C: 7E2402FA FF00B155
	v_perm_b32 v61, v18, v85, v17                              // 000000006594: D1ED003D 0446AB12
	v_mov_b32_dpp v18, v86 quad_perm:[1,0,3,2] row_mask:0xf bank_mask:0xf// 00000000659C: 7E2402FA FF00B156
	v_perm_b32 v62, v18, v86, v17                              // 0000000065A4: D1ED003E 0446AD12
	v_mov_b32_dpp v18, v87 quad_perm:[1,0,3,2] row_mask:0xf bank_mask:0xf// 0000000065AC: 7E2402FA FF00B157
	v_perm_b32 v63, v18, v87, v17                              // 0000000065B4: D1ED003F 0446AF12
	v_mfma_f32_16x16x16_bf16 v[200:203], v[134:135], v[172:173], v[200:203]// 0000000065BC: D3E100C8 07235986
	ds_write_b32 v20, v58 offset:24320                         // 0000000065C4: D81A5F00 00003A14
	ds_write_b32 v20, v59 offset:24864                         // 0000000065CC: D81A6120 00003B14
	v_mfma_f32_16x16x16_bf16 v[204:207], v[136:137], v[172:173], v[204:207]// 0000000065D4: D3E100CC 07335988
	v_mfma_f32_16x16x16_bf16 v[208:211], v[138:139], v[172:173], v[208:211]// 0000000065DC: D3E100D0 0743598A
	ds_write_b32 v20, v60 offset:26624                         // 0000000065E4: D81A6800 00003C14
	ds_write_b32 v20, v61 offset:27168                         // 0000000065EC: D81A6A20 00003D14
	ds_write_b32 v20, v62 offset:28928                         // 0000000065F4: D81A7100 00003E14
	ds_write_b32 v20, v63 offset:29472                         // 0000000065FC: D81A7320 00003F14
	v_mfma_f32_16x16x16_bf16 v[212:215], v[132:133], v[174:175], v[212:215]// 000000006604: D3E100D4 07535D84
	v_mfma_f32_16x16x16_bf16 v[216:219], v[134:135], v[174:175], v[216:219]// 00000000660C: D3E100D8 07635D86
	ds_write_b32 v15, v100 offset:4352                         // 000000006614: D81A1100 0000640F
	ds_write_b32 v15, v101 offset:5408                         // 00000000661C: D81A1520 0000650F
	v_mfma_f32_16x16x16_bf16 v[220:223], v[136:137], v[174:175], v[220:223]// 000000006624: D3E100DC 07735D88
	s_nop 0                                                    // 00000000662C: BF800000
	s_nop 0                                                    // 000000006630: BF800000
	s_nop 0                                                    // 000000006634: BF800000
	v_mfma_f32_16x16x16_bf16 v[224:227], v[138:139], v[174:175], v[224:227]// 000000006638: D3E100E0 07835D8A
	ds_write_b32 v15, v102 offset:6528                         // 000000006640: D81A1980 0000660F
	ds_write_b32 v15, v103 offset:7584                         // 000000006648: D81A1DA0 0000670F
	s_barrier                                                  // 000000006650: BF8A0000
	v_mfma_f32_16x16x16_bf16 a[112:115], a[96:97], v[76:77], a[112:115]// 000000006654: D3E18070 0DC29960
	buffer_atomic_add_f32 v156, v6, s[32:35], 0 idxen          // 00000000665C: E1342000 80089C06
	v_mfma_f32_16x16x16_bf16 a[116:119], a[98:99], v[76:77], a[116:119]// 000000006664: D3E18074 0DD29962
	ds_read_b32 v140, v23 offset:39936                         // 00000000666C: D86C9C00 8C000017
	ds_read_b32 v144, v23 offset:40000                         // 000000006674: D86C9C40 90000017
	ds_read_b32 v176, v23 offset:40192                         // 00000000667C: D86C9D00 B0000017
	ds_read_b32 v177, v23 offset:40256                         // 000000006684: D86C9D40 B1000017
	v_mfma_f32_16x16x16_bf16 a[120:123], a[100:101], v[76:77], a[120:123]// 00000000668C: D3E18078 0DE29964
	s_waitcnt lgkmcnt(8)                                       // 000000006694: BF8CC87F
	s_barrier                                                  // 000000006698: BF8A0000
	v_mfma_f32_16x16x16_bf16 a[124:127], a[102:103], v[76:77], a[124:127]// 00000000669C: D3E1807C 0DF29966
	ds_read_b128 v[52:55], v19 offset:17408                    // 0000000066A4: D9FE4400 34000013
	v_mfma_f32_16x16x16_bf16 a[128:131], a[96:97], v[78:79], a[128:131]// 0000000066AC: D3E18080 0E029D60
	v_mfma_f32_16x16x16_bf16 a[132:135], a[98:99], v[78:79], a[132:135]// 0000000066B4: D3E18084 0E129D62
	ds_read_b128 v[56:59], v19 offset:18560                    // 0000000066BC: D9FE4880 38000013
	v_mfma_f32_16x16x16_bf16 a[136:139], a[100:101], v[78:79], a[136:139]// 0000000066C4: D3E18088 0E229D64
	buffer_atomic_add_f32 v157, v7, s[32:35], 0 idxen          // 0000000066CC: E1342000 80089D07
	v_mfma_f32_16x16x16_bf16 a[140:143], a[102:103], v[78:79], a[140:143]// 0000000066D4: D3E1808C 0E329D66
	ds_read_b128 v[60:63], v19 offset:19712                    // 0000000066DC: D9FE4D00 3C000013
	v_mfma_f32_16x16x16_bf16 a[144:147], a[96:97], v[80:81], a[144:147]// 0000000066E4: D3E18090 0E42A160
	v_mfma_f32_16x16x16_bf16 a[148:151], a[98:99], v[80:81], a[148:151]// 0000000066EC: D3E18094 0E52A162
	ds_read_b128 v[64:67], v19 offset:20864                    // 0000000066F4: D9FE5180 40000013
	v_mfma_f32_16x16x16_bf16 a[152:155], a[100:101], v[80:81], a[152:155]// 0000000066FC: D3E18098 0E62A164
	v_mfma_f32_16x16x16_bf16 a[156:159], a[102:103], v[80:81], a[156:159]// 000000006704: D3E1809C 0E72A166
	ds_read_b128 v[68:71], v19 offset:22016                    // 00000000670C: D9FE5600 44000013
	v_mfma_f32_16x16x16_bf16 a[112:115], a[104:105], v[82:83], a[112:115]// 000000006714: D3E18070 0DC2A568
	buffer_atomic_add_f32 v158, v6, s[32:35], 0 idxen offset:128// 00000000671C: E1342080 80089E06
	v_mfma_f32_16x16x16_bf16 a[116:119], a[106:107], v[82:83], a[116:119]// 000000006724: D3E18074 0DD2A56A
	ds_read_b128 v[72:75], v19 offset:23168                    // 00000000672C: D9FE5A80 48000013
	v_mfma_f32_16x16x16_bf16 a[120:123], a[108:109], v[82:83], a[120:123]// 000000006734: D3E18078 0DE2A56C
	v_mfma_f32_16x16x16_bf16 a[124:127], a[110:111], v[82:83], a[124:127]// 00000000673C: D3E1807C 0DF2A56E
	ds_write_b32 v15, v104 offset:13056                        // 000000006744: D81A3300 0000680F
	v_mfma_f32_16x16x16_bf16 a[128:131], a[104:105], v[84:85], a[128:131]// 00000000674C: D3E18080 0E02A968
	v_mfma_f32_16x16x16_bf16 a[132:135], a[106:107], v[84:85], a[132:135]// 000000006754: D3E18084 0E12A96A
	ds_write_b32 v15, v105 offset:14112                        // 00000000675C: D81A3720 0000690F
	v_mfma_f32_16x16x16_bf16 a[136:139], a[108:109], v[84:85], a[136:139]// 000000006764: D3E18088 0E22A96C
	buffer_atomic_add_f32 v159, v7, s[32:35], 0 idxen offset:128// 00000000676C: E1342080 80089F07
	v_mfma_f32_16x16x16_bf16 a[140:143], a[110:111], v[84:85], a[140:143]// 000000006774: D3E1808C 0E32A96E
	ds_write_b32 v15, v106 offset:15232                        // 00000000677C: D81A3B80 00006A0F
	v_mfma_f32_16x16x16_bf16 a[144:147], a[104:105], v[86:87], a[144:147]// 000000006784: D3E18090 0E42AD68
	v_mfma_f32_16x16x16_bf16 a[148:151], a[106:107], v[86:87], a[148:151]// 00000000678C: D3E18094 0E52AD6A
	ds_write_b32 v15, v107 offset:16288                        // 000000006794: D81A3FA0 00006B0F
	v_mfma_f32_16x16x16_bf16 a[152:155], a[108:109], v[86:87], a[152:155]// 00000000679C: D3E18098 0E62AD6C
	v_mfma_f32_16x16x16_bf16 a[156:159], a[110:111], v[86:87], a[156:159]// 0000000067A4: D3E1809C 0E72AD6E
	s_waitcnt vmcnt(8) lgkmcnt(4)                              // 0000000067AC: BF8C0478
	s_barrier                                                  // 0000000067B0: BF8A0000
	v_mfma_f32_16x16x16_bf16 v[148:151], v[52:53], a[24:25], 0 // 0000000067B4: D3E10094 12023134
	v_mul_f32_e32 v140, s48, v140                              // 0000000067BC: 0B191830
	v_mul_f32_e32 v144, s48, v144                              // 0000000067C0: 0B212030
	s_nop 0                                                    // 0000000067C4: BF800000
	v_mfma_f32_16x16x16_bf16 v[148:151], v[54:55], a[28:29], v[148:151]// 0000000067C8: D3E10094 16523936
	ds_read_b128 a[96:99], v12                                 // 0000000067D0: DBFE0000 6000000C
	buffer_load_dword v40, v1, s[8:11], 0 idxen                // 0000000067D8: E0502000 80022801
	v_mfma_f32_16x16x16_bf16 v[148:151], v[56:57], a[32:33], v[148:151]// 0000000067E0: D3E10094 16524138
	v_mfma_f32_16x16x16_bf16 v[148:151], v[58:59], a[36:37], v[148:151]// 0000000067E8: D3E10094 1652493A
	ds_read_b128 a[100:103], v12 offset:512                    // 0000000067F0: DBFE0200 6400000C
	buffer_load_dword v41, v2, s[8:11], 0 idxen                // 0000000067F8: E0502000 80022902
	v_mfma_f32_16x16x16_bf16 v[148:151], v[60:61], a[40:41], v[148:151]// 000000006800: D3E10094 1652513C
	v_perm_b32 v100, v37, v36, s63                             // 000000006808: D1ED0064 00FE4925
	v_perm_b32 v101, v37, v36, s64                             // 000000006810: D1ED0065 01024925
	v_mfma_f32_16x16x16_bf16 v[148:151], v[62:63], a[44:45], v[148:151]// 000000006818: D3E10094 1652593E
	ds_read_b128 a[104:107], v12 offset:2176                   // 000000006820: DBFE0880 6800000C
	buffer_load_dword v42, v3, s[8:11], 0 idxen                // 000000006828: E0502000 80022A03
	v_mfma_f32_16x16x16_bf16 v[148:151], v[64:65], a[48:49], v[148:151]// 000000006830: D3E10094 16526140
	v_perm_b32 v102, v39, v38, s63                             // 000000006838: D1ED0066 00FE4D27
	v_perm_b32 v103, v39, v38, s64                             // 000000006840: D1ED0067 01024D27
	v_mfma_f32_16x16x16_bf16 v[148:151], v[66:67], a[52:53], v[148:151]// 000000006848: D3E10094 16526942
	ds_read_b128 a[108:111], v12 offset:2688                   // 000000006850: DBFE0A80 6C00000C
	buffer_load_dword v43, v4, s[8:11], 0 idxen                // 000000006858: E0502000 80022B04
	v_mfma_f32_16x16x16_bf16 v[148:151], v[68:69], a[56:57], v[148:151]// 000000006860: D3E10094 16527144
	v_perm_b32 v104, v45, v44, s63                             // 000000006868: D1ED0068 00FE592D
	v_perm_b32 v105, v45, v44, s64                             // 000000006870: D1ED0069 0102592D
	v_mfma_f32_16x16x16_bf16 v[148:151], v[70:71], a[60:61], v[148:151]// 000000006878: D3E10094 16527946
	ds_read_b128 v[108:111], v12 offset:8704                   // 000000006880: D9FE2200 6C00000C
	buffer_load_dword v48, v232, s[20:23], 0 idxen             // 000000006888: E0502000 800530E8
	v_mfma_f32_16x16x16_bf16 v[148:151], v[72:73], a[64:65], v[148:151]// 000000006890: D3E10094 16528148
	v_perm_b32 v106, v47, v46, s63                             // 000000006898: D1ED006A 00FE5D2F
	v_perm_b32 v107, v47, v46, s64                             // 0000000068A0: D1ED006B 01025D2F
	v_mfma_f32_16x16x16_bf16 v[148:151], v[74:75], a[68:69], v[148:151]// 0000000068A8: D3E10094 1652894A
	ds_read_b128 v[112:115], v12 offset:9216                   // 0000000068B0: D9FE2400 7000000C
	buffer_load_dword v49, v233, s[20:23], 0 idxen             // 0000000068B8: E0502000 800531E9
	v_mfma_f32_16x16x16_bf16 v[152:155], v[52:53], a[26:27], 0 // 0000000068C0: D3E10098 12023534
	v_mov_b32_dpp v143, v140 quad_perm:[3,3,3,3] row_mask:0xf bank_mask:0xf// 0000000068C8: 7F1E02FA FF00FF8C
	v_mov_b32_dpp v142, v140 quad_perm:[2,2,2,2] row_mask:0xf bank_mask:0xf// 0000000068D0: 7F1C02FA FF00AA8C
	v_mov_b32_dpp v141, v140 quad_perm:[1,1,1,1] row_mask:0xf bank_mask:0xf// 0000000068D8: 7F1A02FA FF00558C
	v_mov_b32_dpp v140, v140 quad_perm:[0,0,0,0] row_mask:0xf bank_mask:0xf// 0000000068E0: 7F1802FA FF00008C
	v_mfma_f32_16x16x16_bf16 v[152:155], v[54:55], a[30:31], v[152:155]// 0000000068E8: D3E10098 16623D36
	ds_read_b128 v[116:119], v12 offset:10880                  // 0000000068F0: D9FE2A80 7400000C
	buffer_load_dword v50, v234, s[20:23], 0 idxen             // 0000000068F8: E0502000 800532EA
	v_mfma_f32_16x16x16_bf16 v[152:155], v[56:57], a[34:35], v[152:155]// 000000006900: D3E10098 16624538
	v_mov_b32_dpp v147, v144 quad_perm:[3,3,3,3] row_mask:0xf bank_mask:0xf// 000000006908: 7F2602FA FF00FF90
	v_mov_b32_dpp v146, v144 quad_perm:[2,2,2,2] row_mask:0xf bank_mask:0xf// 000000006910: 7F2402FA FF00AA90
	v_mov_b32_dpp v145, v144 quad_perm:[1,1,1,1] row_mask:0xf bank_mask:0xf// 000000006918: 7F2202FA FF005590
	v_mov_b32_dpp v144, v144 quad_perm:[0,0,0,0] row_mask:0xf bank_mask:0xf// 000000006920: 7F2002FA FF000090
	s_add_u32 s60, 0x80, s59                                   // 000000006928: 803C3BFF 00000080
	v_mfma_f32_16x16x16_bf16 v[152:155], v[58:59], a[38:39], v[152:155]// 000000006930: D3E10098 16624D3A
	ds_read_b128 v[120:123], v12 offset:11392                  // 000000006938: D9FE2C80 7800000C
	buffer_load_dword v51, v235, s[20:23], 0 idxen             // 000000006940: E0502000 800533EB
	v_mfma_f32_16x16x16_bf16 v[152:155], v[60:61], a[42:43], v[152:155]// 000000006948: D3E10098 1662553C
	s_cmp_lt_u32 s60, s58                                      // 000000006950: BF0A3A3C
	s_cselect_b32 s68, s68, 0                                  // 000000006954: 85448044
	s_cselect_b32 s99, s99, 0                                  // 000000006958: 85638063
	s_cselect_b32 s69, s69, 0                                  // 00000000695C: 85458045
	v_mfma_f32_16x16x16_bf16 v[152:155], v[62:63], a[46:47], v[152:155]// 000000006960: D3E10098 16625D3E
	buffer_load_dword v11, s[24:27], 0 idxen lds               // 000000006968: E0512000 8006000B
	v_mfma_f32_16x16x16_bf16 v[152:155], v[64:65], a[50:51], v[152:155]// 000000006970: D3E10098 16626540
	v_add_u32_e32 v1, s68, v1                                  // 000000006978: 68020244
	v_add_u32_e32 v2, s68, v2                                  // 00000000697C: 68040444
	v_add_u32_e32 v3, s68, v3                                  // 000000006980: 68060644
	v_add_u32_e32 v4, s68, v4                                  // 000000006984: 68080844
	v_mfma_f32_16x16x16_bf16 v[152:155], v[66:67], a[54:55], v[152:155]// 000000006988: D3E10098 16626D42
	v_add_u32_e32 v232, s99, v232                              // 000000006990: 69D1D063
	v_add_u32_e32 v233, s99, v233                              // 000000006994: 69D3D263
	v_add_u32_e32 v234, s99, v234                              // 000000006998: 69D5D463
	v_add_u32_e32 v235, s99, v235                              // 00000000699C: 69D7D663
	v_mfma_f32_16x16x16_bf16 v[152:155], v[68:69], a[58:59], v[152:155]// 0000000069A0: D3E10098 16627544
	s_mov_b32 m0, s80                                          // 0000000069A8: BEFC0050
	v_add_u32_e32 v11, s69, v11                                // 0000000069AC: 68161645
	v_mfma_f32_16x16x16_bf16 v[152:155], v[70:71], a[62:63], v[152:155]// 0000000069B0: D3E10098 16627D46
	s_cmp_ge_u32 s59, s73                                      // 0000000069B8: BF09493B
	s_cselect_b32 s66, s67, s66                                // 0000000069BC: 85424243
	v_mfma_f32_16x16x16_bf16 v[152:155], v[72:73], a[66:67], v[152:155]// 0000000069C0: D3E10098 16628548
	s_addk_i32 s59, 0x20                                       // 0000000069C8: B73B0020
	s_nop 0                                                    // 0000000069CC: BF800000
	s_cmp_lt_i32 s59, s58                                      // 0000000069D0: BF043A3B
	v_mfma_f32_16x16x16_bf16 v[152:155], v[74:75], a[70:71], v[152:155]// 0000000069D4: D3E10098 16628D4A
	s_cbranch_scc0 label_0EB5                                  // 0000000069DC: BF84042B
	s_waitcnt lgkmcnt(0)                                       // 0000000069E0: BF8CC07F
	s_barrier                                                  // 0000000069E4: BF8A0000
	v_mfma_f32_16x16x16_bf16 v[52:55], a[96:97], a[0:1], 0     // 0000000069E8: D3E10034 1A020160
	ds_write_b32 v13, v44 offset:8704                          // 0000000069F0: D81A2200 00002C0D
	ds_write_b32 v13, v45 offset:9760                          // 0000000069F8: D81A2620 00002D0D
	v_mfma_f32_16x16x16_bf16 v[52:55], a[98:99], a[2:3], v[52:55]// 000000006A00: D3E10034 1CD20562
	v_mul_f32_e32 v148, s47, v148                              // 000000006A08: 0B29282F
	v_mul_f32_e32 v149, s47, v149                              // 000000006A0C: 0B2B2A2F
	v_mfma_f32_16x16x16_bf16 v[52:55], a[100:101], a[4:5], v[52:55]// 000000006A10: D3E10034 1CD20964
	ds_write_b32 v13, v46 offset:10880                         // 000000006A18: D81A2A80 00002E0D
	ds_write_b32 v13, v47 offset:11936                         // 000000006A20: D81A2EA0 00002F0D
	v_mfma_f32_16x16x16_bf16 v[52:55], a[102:103], a[6:7], v[52:55]// 000000006A28: D3E10034 1CD20D66
	v_mul_f32_e32 v150, s47, v150                              // 000000006A30: 0B2D2C2F
	v_mul_f32_e32 v151, s47, v151                              // 000000006A34: 0B2F2E2F
	v_mfma_f32_16x16x16_bf16 v[56:59], a[96:97], a[8:9], 0     // 000000006A38: D3E10038 1A021160
	ds_write_b64 v22, v[148:149] offset:31232                  // 000000006A40: D89A7A00 00009416
	v_mfma_f32_16x16x16_bf16 v[56:59], a[98:99], a[10:11], v[56:59]// 000000006A48: D3E10038 1CE21562
	v_mul_f32_e32 v152, s47, v152                              // 000000006A50: 0B31302F
	v_mul_f32_e32 v153, s47, v153                              // 000000006A54: 0B33322F
	v_mfma_f32_16x16x16_bf16 v[56:59], a[100:101], a[12:13], v[56:59]// 000000006A58: D3E10038 1CE21964
	ds_write_b64 v22, v[150:151] offset:31744                  // 000000006A60: D89A7C00 00009616
	v_mfma_f32_16x16x16_bf16 v[56:59], a[102:103], a[14:15], v[56:59]// 000000006A68: D3E10038 1CE21D66
	v_mul_f32_e32 v154, s47, v154                              // 000000006A70: 0B35342F
	v_mul_f32_e32 v155, s47, v155                              // 000000006A74: 0B37362F
	v_mfma_f32_16x16x16_bf16 v[60:63], a[96:97], a[16:17], 0   // 000000006A78: D3E1003C 1A022160
	ds_write_b64 v22, v[152:153] offset:32256                  // 000000006A80: D89A7E00 00009816
	v_mfma_f32_16x16x16_bf16 v[60:63], a[98:99], a[18:19], v[60:63]// 000000006A88: D3E1003C 1CF22562
	buffer_atomic_add_f32 v160, v8, s[32:35], 0 idxen          // 000000006A90: E1342000 8008A008
	v_mfma_f32_16x16x16_bf16 v[60:63], a[100:101], a[20:21], v[60:63]// 000000006A98: D3E1003C 1CF22964
	ds_write_b64 v22, v[154:155] offset:32768                  // 000000006AA0: D89A8000 00009A16
	v_mfma_f32_16x16x16_bf16 v[60:63], a[102:103], a[22:23], v[60:63]// 000000006AA8: D3E1003C 1CF22D66
	v_mfma_f32_16x16x16_bf16 v[64:67], a[104:105], a[0:1], 0   // 000000006AB0: D3E10040 1A020168
	ds_read_b128 v[124:127], v14 offset:13056                  // 000000006AB8: D9FE3300 7C00000E
	ds_write_b32 v13, v36                                      // 000000006AC0: D81A0000 0000240D
	v_mfma_f32_16x16x16_bf16 v[64:67], a[106:107], a[2:3], v[64:67]// 000000006AC8: D3E10040 1D02056A
	buffer_atomic_add_f32 v161, v9, s[32:35], 0 idxen          // 000000006AD0: E1342000 8008A109
	v_mfma_f32_16x16x16_bf16 v[64:67], a[108:109], a[4:5], v[64:67]// 000000006AD8: D3E10040 1D02096C
	v_mfma_f32_16x16x16_bf16 v[64:67], a[110:111], a[6:7], v[64:67]// 000000006AE0: D3E10040 1D020D6E
	ds_read_b128 v[128:131], v14 offset:13568                  // 000000006AE8: D9FE3500 8000000E
	ds_write_b32 v13, v37 offset:1056                          // 000000006AF0: D81A0420 0000250D
	v_mfma_f32_16x16x16_bf16 v[68:71], a[104:105], a[8:9], 0   // 000000006AF8: D3E10044 1A021168
	buffer_atomic_add_f32 v162, v8, s[32:35], 0 idxen offset:128// 000000006B00: E1342080 8008A208
	v_mfma_f32_16x16x16_bf16 v[68:71], a[106:107], a[10:11], v[68:71]// 000000006B08: D3E10044 1D12156A
	v_mfma_f32_16x16x16_bf16 v[68:71], a[108:109], a[12:13], v[68:71]// 000000006B10: D3E10044 1D12196C
	ds_read_b128 v[132:135], v14 offset:15232                  // 000000006B18: D9FE3B80 8400000E
	ds_write_b32 v13, v38 offset:2176                          // 000000006B20: D81A0880 0000260D
	v_mfma_f32_16x16x16_bf16 v[68:71], a[110:111], a[14:15], v[68:71]// 000000006B28: D3E10044 1D121D6E
	v_mfma_f32_16x16x16_bf16 v[72:75], a[104:105], a[16:17], 0 // 000000006B30: D3E10048 1A022168
	buffer_atomic_add_f32 v163, v9, s[32:35], 0 idxen offset:128// 000000006B38: E1342080 8008A309
	v_mfma_f32_16x16x16_bf16 v[72:75], a[106:107], a[18:19], v[72:75]// 000000006B40: D3E10048 1D22256A
	ds_read_b128 v[136:139], v14 offset:15744                  // 000000006B48: D9FE3D80 8800000E
	ds_write_b32 v13, v39 offset:3232                          // 000000006B50: D81A0CA0 0000270D
	v_mfma_f32_16x16x16_bf16 v[72:75], a[108:109], a[20:21], v[72:75]// 000000006B58: D3E10048 1D22296C
	v_mfma_f32_16x16x16_bf16 v[72:75], a[110:111], a[22:23], v[72:75]// 000000006B60: D3E10048 1D222D6E
	s_cmp_lt_i32 s74, 12                                       // 000000006B68: BF048C4A
	s_cbranch_scc0 label_0BCB                                  // 000000006B6C: BF8400E6
	s_mov_b32 s60, 0xffe0fffe                                  // 000000006B70: BEBC00FF FFE0FFFE
	s_mov_b32 s61, 0xe000fe00                                  // 000000006B78: BEBD00FF E000FE00
	s_nop 0                                                    // 000000006B80: BF800000
	s_add_u32 s62, 0, s46                                      // 000000006B84: 803E2E80
	s_cmp_lt_i32 s74, s62                                      // 000000006B88: BF043E4A
	s_cbranch_scc1 label_0B15                                  // 000000006B8C: BF850028
	s_cmp_eq_i32 s74, s62                                      // 000000006B90: BF003E4A
	s_cbranch_scc1 label_0AFA                                  // 000000006B94: BF85000B
	s_add_u32 s62, 4, s46                                      // 000000006B98: 803E2E84
	s_cmp_lt_i32 s74, s62                                      // 000000006B9C: BF043E4A
	s_cbranch_scc1 label_0B35                                  // 000000006BA0: BF850043
	s_cmp_eq_i32 s74, s62                                      // 000000006BA4: BF003E4A
	s_cbranch_scc1 label_0B1A                                  // 000000006BA8: BF850026
	s_add_u32 s62, 8, s46                                      // 000000006BAC: 803E2E88
	s_cmp_lt_i32 s74, s62                                      // 000000006BB0: BF043E4A
	s_cbranch_scc1 label_0B55                                  // 000000006BB4: BF85005E
	s_cmp_eq_i32 s74, s62                                      // 000000006BB8: BF003E4A
	s_cbranch_scc1 label_0B3A                                  // 000000006BBC: BF850041
	s_branch label_0B5A                                        // 000000006BC0: BF820060

0000000000006bc4 <label_0AFA>:
	v_cndmask_b32_e64 v52, v52, v178, s[60:61]                 // 000000006BC4: D1000034 00F36534
	s_lshl_b32 s60, s60, 1                                     // 000000006BCC: 8E3C813C
	s_lshl_b32 s61, s61, 1                                     // 000000006BD0: 8E3D813D
	s_and_b32 s60, 0xfffeffff, s60                             // 000000006BD4: 863C3CFF FFFEFFFF
	s_and_b32 s61, 0xfffeffff, s61                             // 000000006BDC: 863D3DFF FFFEFFFF
	v_cndmask_b32_e64 v53, v53, v178, s[60:61]                 // 000000006BE4: D1000035 00F36535
	s_lshl_b32 s60, s60, 1                                     // 000000006BEC: 8E3C813C
	s_lshl_b32 s61, s61, 1                                     // 000000006BF0: 8E3D813D
	s_and_b32 s60, 0xfffeffff, s60                             // 000000006BF4: 863C3CFF FFFEFFFF
	s_and_b32 s61, 0xfffeffff, s61                             // 000000006BFC: 863D3DFF FFFEFFFF
	v_cndmask_b32_e64 v54, v54, v178, s[60:61]                 // 000000006C04: D1000036 00F36536
	s_lshl_b32 s60, s60, 1                                     // 000000006C0C: 8E3C813C
	s_lshl_b32 s61, s61, 1                                     // 000000006C10: 8E3D813D
	s_and_b32 s60, 0xfffeffff, s60                             // 000000006C14: 863C3CFF FFFEFFFF
	s_and_b32 s61, 0xfffeffff, s61                             // 000000006C1C: 863D3DFF FFFEFFFF
	v_cndmask_b32_e64 v55, v55, v178, s[60:61]                 // 000000006C24: D1000037 00F36537
	s_branch label_0B35                                        // 000000006C2C: BF820020

0000000000006c30 <label_0B15>:
	v_mov_b32_e32 v52, v178                                    // 000000006C30: 7E6803B2
	v_mov_b32_e32 v53, v178                                    // 000000006C34: 7E6A03B2
	v_mov_b32_e32 v54, v178                                    // 000000006C38: 7E6C03B2
	v_mov_b32_e32 v55, v178                                    // 000000006C3C: 7E6E03B2
	s_branch label_0B35                                        // 000000006C40: BF82001B

0000000000006c44 <label_0B1A>:
	v_cndmask_b32_e64 v56, v56, v178, s[60:61]                 // 000000006C44: D1000038 00F36538
	s_lshl_b32 s60, s60, 1                                     // 000000006C4C: 8E3C813C
	s_lshl_b32 s61, s61, 1                                     // 000000006C50: 8E3D813D
	s_and_b32 s60, 0xfffeffff, s60                             // 000000006C54: 863C3CFF FFFEFFFF
	s_and_b32 s61, 0xfffeffff, s61                             // 000000006C5C: 863D3DFF FFFEFFFF
	v_cndmask_b32_e64 v57, v57, v178, s[60:61]                 // 000000006C64: D1000039 00F36539
	s_lshl_b32 s60, s60, 1                                     // 000000006C6C: 8E3C813C
	s_lshl_b32 s61, s61, 1                                     // 000000006C70: 8E3D813D
	s_and_b32 s60, 0xfffeffff, s60                             // 000000006C74: 863C3CFF FFFEFFFF
	s_and_b32 s61, 0xfffeffff, s61                             // 000000006C7C: 863D3DFF FFFEFFFF
	v_cndmask_b32_e64 v58, v58, v178, s[60:61]                 // 000000006C84: D100003A 00F3653A
	s_lshl_b32 s60, s60, 1                                     // 000000006C8C: 8E3C813C
	s_lshl_b32 s61, s61, 1                                     // 000000006C90: 8E3D813D
	s_and_b32 s60, 0xfffeffff, s60                             // 000000006C94: 863C3CFF FFFEFFFF
	s_and_b32 s61, 0xfffeffff, s61                             // 000000006C9C: 863D3DFF FFFEFFFF
	v_cndmask_b32_e64 v59, v59, v178, s[60:61]                 // 000000006CA4: D100003B 00F3653B
	s_branch label_0B55                                        // 000000006CAC: BF820020

0000000000006cb0 <label_0B35>:
	v_mov_b32_e32 v56, v178                                    // 000000006CB0: 7E7003B2
	v_mov_b32_e32 v57, v178                                    // 000000006CB4: 7E7203B2
	v_mov_b32_e32 v58, v178                                    // 000000006CB8: 7E7403B2
	v_mov_b32_e32 v59, v178                                    // 000000006CBC: 7E7603B2
	s_branch label_0B55                                        // 000000006CC0: BF82001B

0000000000006cc4 <label_0B3A>:
	v_cndmask_b32_e64 v60, v60, v178, s[60:61]                 // 000000006CC4: D100003C 00F3653C
	s_lshl_b32 s60, s60, 1                                     // 000000006CCC: 8E3C813C
	s_lshl_b32 s61, s61, 1                                     // 000000006CD0: 8E3D813D
	s_and_b32 s60, 0xfffeffff, s60                             // 000000006CD4: 863C3CFF FFFEFFFF
	s_and_b32 s61, 0xfffeffff, s61                             // 000000006CDC: 863D3DFF FFFEFFFF
	v_cndmask_b32_e64 v61, v61, v178, s[60:61]                 // 000000006CE4: D100003D 00F3653D
	s_lshl_b32 s60, s60, 1                                     // 000000006CEC: 8E3C813C
	s_lshl_b32 s61, s61, 1                                     // 000000006CF0: 8E3D813D
	s_and_b32 s60, 0xfffeffff, s60                             // 000000006CF4: 863C3CFF FFFEFFFF
	s_and_b32 s61, 0xfffeffff, s61                             // 000000006CFC: 863D3DFF FFFEFFFF
	v_cndmask_b32_e64 v62, v62, v178, s[60:61]                 // 000000006D04: D100003E 00F3653E
	s_lshl_b32 s60, s60, 1                                     // 000000006D0C: 8E3C813C
	s_lshl_b32 s61, s61, 1                                     // 000000006D10: 8E3D813D
	s_and_b32 s60, 0xfffeffff, s60                             // 000000006D14: 863C3CFF FFFEFFFF
	s_and_b32 s61, 0xfffeffff, s61                             // 000000006D1C: 863D3DFF FFFEFFFF
	v_cndmask_b32_e64 v63, v63, v178, s[60:61]                 // 000000006D24: D100003F 00F3653F
	s_branch label_0B5A                                        // 000000006D2C: BF820005

0000000000006d30 <label_0B55>:
	v_mov_b32_e32 v60, v178                                    // 000000006D30: 7E7803B2
	v_mov_b32_e32 v61, v178                                    // 000000006D34: 7E7A03B2
	v_mov_b32_e32 v62, v178                                    // 000000006D38: 7E7C03B2
	v_mov_b32_e32 v63, v178                                    // 000000006D3C: 7E7E03B2
	s_branch label_0B5A                                        // 000000006D40: BF820000

0000000000006d44 <label_0B5A>:
	s_addk_i32 s74, 0x1                                        // 000000006D44: B74A0001
	s_add_u32 s62, 0, s46                                      // 000000006D48: 803E2E80
	s_cmp_lt_i32 s74, s62                                      // 000000006D4C: BF043E4A
	s_cbranch_scc1 label_0B86                                  // 000000006D50: BF850028
	s_cmp_eq_i32 s74, s62                                      // 000000006D54: BF003E4A
	s_cbranch_scc1 label_0B6B                                  // 000000006D58: BF85000B
	s_add_u32 s62, 4, s46                                      // 000000006D5C: 803E2E84
	s_cmp_lt_i32 s74, s62                                      // 000000006D60: BF043E4A
	s_cbranch_scc1 label_0BA6                                  // 000000006D64: BF850043
	s_cmp_eq_i32 s74, s62                                      // 000000006D68: BF003E4A
	s_cbranch_scc1 label_0B8B                                  // 000000006D6C: BF850026
	s_add_u32 s62, 8, s46                                      // 000000006D70: 803E2E88
	s_cmp_lt_i32 s74, s62                                      // 000000006D74: BF043E4A
	s_cbranch_scc1 label_0BC6                                  // 000000006D78: BF85005E
	s_cmp_eq_i32 s74, s62                                      // 000000006D7C: BF003E4A
	s_cbranch_scc1 label_0BAB                                  // 000000006D80: BF850041
	s_branch label_0BCB                                        // 000000006D84: BF820060

0000000000006d88 <label_0B6B>:
	v_cndmask_b32_e64 v64, v64, v178, s[60:61]                 // 000000006D88: D1000040 00F36540
	s_lshl_b32 s60, s60, 1                                     // 000000006D90: 8E3C813C
	s_lshl_b32 s61, s61, 1                                     // 000000006D94: 8E3D813D
	s_and_b32 s60, 0xfffeffff, s60                             // 000000006D98: 863C3CFF FFFEFFFF
	s_and_b32 s61, 0xfffeffff, s61                             // 000000006DA0: 863D3DFF FFFEFFFF
	v_cndmask_b32_e64 v65, v65, v178, s[60:61]                 // 000000006DA8: D1000041 00F36541
	s_lshl_b32 s60, s60, 1                                     // 000000006DB0: 8E3C813C
	s_lshl_b32 s61, s61, 1                                     // 000000006DB4: 8E3D813D
	s_and_b32 s60, 0xfffeffff, s60                             // 000000006DB8: 863C3CFF FFFEFFFF
	s_and_b32 s61, 0xfffeffff, s61                             // 000000006DC0: 863D3DFF FFFEFFFF
	v_cndmask_b32_e64 v66, v66, v178, s[60:61]                 // 000000006DC8: D1000042 00F36542
	s_lshl_b32 s60, s60, 1                                     // 000000006DD0: 8E3C813C
	s_lshl_b32 s61, s61, 1                                     // 000000006DD4: 8E3D813D
	s_and_b32 s60, 0xfffeffff, s60                             // 000000006DD8: 863C3CFF FFFEFFFF
	s_and_b32 s61, 0xfffeffff, s61                             // 000000006DE0: 863D3DFF FFFEFFFF
	v_cndmask_b32_e64 v67, v67, v178, s[60:61]                 // 000000006DE8: D1000043 00F36543
	s_branch label_0BA6                                        // 000000006DF0: BF820020

0000000000006df4 <label_0B86>:
	v_mov_b32_e32 v64, v178                                    // 000000006DF4: 7E8003B2
	v_mov_b32_e32 v65, v178                                    // 000000006DF8: 7E8203B2
	v_mov_b32_e32 v66, v178                                    // 000000006DFC: 7E8403B2
	v_mov_b32_e32 v67, v178                                    // 000000006E00: 7E8603B2
	s_branch label_0BA6                                        // 000000006E04: BF82001B

0000000000006e08 <label_0B8B>:
	v_cndmask_b32_e64 v68, v68, v178, s[60:61]                 // 000000006E08: D1000044 00F36544
	s_lshl_b32 s60, s60, 1                                     // 000000006E10: 8E3C813C
	s_lshl_b32 s61, s61, 1                                     // 000000006E14: 8E3D813D
	s_and_b32 s60, 0xfffeffff, s60                             // 000000006E18: 863C3CFF FFFEFFFF
	s_and_b32 s61, 0xfffeffff, s61                             // 000000006E20: 863D3DFF FFFEFFFF
	v_cndmask_b32_e64 v69, v69, v178, s[60:61]                 // 000000006E28: D1000045 00F36545
	s_lshl_b32 s60, s60, 1                                     // 000000006E30: 8E3C813C
	s_lshl_b32 s61, s61, 1                                     // 000000006E34: 8E3D813D
	s_and_b32 s60, 0xfffeffff, s60                             // 000000006E38: 863C3CFF FFFEFFFF
	s_and_b32 s61, 0xfffeffff, s61                             // 000000006E40: 863D3DFF FFFEFFFF
	v_cndmask_b32_e64 v70, v70, v178, s[60:61]                 // 000000006E48: D1000046 00F36546
	s_lshl_b32 s60, s60, 1                                     // 000000006E50: 8E3C813C
	s_lshl_b32 s61, s61, 1                                     // 000000006E54: 8E3D813D
	s_and_b32 s60, 0xfffeffff, s60                             // 000000006E58: 863C3CFF FFFEFFFF
	s_and_b32 s61, 0xfffeffff, s61                             // 000000006E60: 863D3DFF FFFEFFFF
	v_cndmask_b32_e64 v71, v71, v178, s[60:61]                 // 000000006E68: D1000047 00F36547
	s_branch label_0BC6                                        // 000000006E70: BF820020

0000000000006e74 <label_0BA6>:
	v_mov_b32_e32 v68, v178                                    // 000000006E74: 7E8803B2
	v_mov_b32_e32 v69, v178                                    // 000000006E78: 7E8A03B2
	v_mov_b32_e32 v70, v178                                    // 000000006E7C: 7E8C03B2
	v_mov_b32_e32 v71, v178                                    // 000000006E80: 7E8E03B2
	s_branch label_0BC6                                        // 000000006E84: BF82001B

0000000000006e88 <label_0BAB>:
	v_cndmask_b32_e64 v72, v72, v178, s[60:61]                 // 000000006E88: D1000048 00F36548
	s_lshl_b32 s60, s60, 1                                     // 000000006E90: 8E3C813C
	s_lshl_b32 s61, s61, 1                                     // 000000006E94: 8E3D813D
	s_and_b32 s60, 0xfffeffff, s60                             // 000000006E98: 863C3CFF FFFEFFFF
	s_and_b32 s61, 0xfffeffff, s61                             // 000000006EA0: 863D3DFF FFFEFFFF
	v_cndmask_b32_e64 v73, v73, v178, s[60:61]                 // 000000006EA8: D1000049 00F36549
	s_lshl_b32 s60, s60, 1                                     // 000000006EB0: 8E3C813C
	s_lshl_b32 s61, s61, 1                                     // 000000006EB4: 8E3D813D
	s_and_b32 s60, 0xfffeffff, s60                             // 000000006EB8: 863C3CFF FFFEFFFF
	s_and_b32 s61, 0xfffeffff, s61                             // 000000006EC0: 863D3DFF FFFEFFFF
	v_cndmask_b32_e64 v74, v74, v178, s[60:61]                 // 000000006EC8: D100004A 00F3654A
	s_lshl_b32 s60, s60, 1                                     // 000000006ED0: 8E3C813C
	s_lshl_b32 s61, s61, 1                                     // 000000006ED4: 8E3D813D
	s_and_b32 s60, 0xfffeffff, s60                             // 000000006ED8: 863C3CFF FFFEFFFF
	s_and_b32 s61, 0xfffeffff, s61                             // 000000006EE0: 863D3DFF FFFEFFFF
	v_cndmask_b32_e64 v75, v75, v178, s[60:61]                 // 000000006EE8: D100004B 00F3654B
	s_branch label_0BCB                                        // 000000006EF0: BF820005

0000000000006ef4 <label_0BC6>:
	v_mov_b32_e32 v72, v178                                    // 000000006EF4: 7E9003B2
	v_mov_b32_e32 v73, v178                                    // 000000006EF8: 7E9203B2
	v_mov_b32_e32 v74, v178                                    // 000000006EFC: 7E9403B2
	v_mov_b32_e32 v75, v178                                    // 000000006F00: 7E9603B2
	s_branch label_0BCB                                        // 000000006F04: BF820000

0000000000006f08 <label_0BCB>:
	s_cmp_lt_i32 s101, 0xc0                                    // 000000006F08: BF04FF65 000000C0
	s_cbranch_scc0 label_0C44                                  // 000000006F10: BF84006D
	s_cmp_le_i32 s101, 64                                      // 000000006F14: BF05C065
	s_cbranch_scc1 label_0BD7                                  // 000000006F18: BF850007
	s_cmp_le_i32 s101, 0x80                                    // 000000006F1C: BF05FF65 00000080
	s_cbranch_scc1 label_0BFB                                  // 000000006F24: BF85001F
	s_cmp_lt_i32 s101, 0xc0                                    // 000000006F28: BF04FF65 000000C0
	s_cbranch_scc1 label_0C1F                                  // 000000006F30: BF850040
	s_branch label_0C44                                        // 000000006F34: BF820064

0000000000006f38 <label_0BD7>:
	s_mov_b32 s60, 0                                           // 000000006F38: BEBC0080
	v_and_b32_e32 v32, 15, v0                                  // 000000006F3C: 2640008F
	v_add_u32_e64 v32, v32, s60                                // 000000006F40: D1340020 00007920
	v_mul_i32_i24_e64 v33, s46, 16                             // 000000006F48: D1060021 0001202E
	v_add_u32_e32 v32, v32, v33                                // 000000006F50: 68404320
	v_cmp_lt_u32_e64 s[60:61], v32, s101                       // 000000006F54: D0C9003C 0000CB20
	s_nop 1                                                    // 000000006F5C: BF800001
	v_cndmask_b32_e64 v52, v178, v52, s[60:61]                 // 000000006F60: D1000034 00F269B2
	v_cndmask_b32_e64 v64, v178, v64, s[60:61]                 // 000000006F68: D1000040 00F281B2
	v_cndmask_b32_e64 v53, v178, v53, s[60:61]                 // 000000006F70: D1000035 00F26BB2
	v_cndmask_b32_e64 v65, v178, v65, s[60:61]                 // 000000006F78: D1000041 00F283B2
	v_cndmask_b32_e64 v54, v178, v54, s[60:61]                 // 000000006F80: D1000036 00F26DB2
	v_cndmask_b32_e64 v66, v178, v66, s[60:61]                 // 000000006F88: D1000042 00F285B2
	v_cndmask_b32_e64 v55, v178, v55, s[60:61]                 // 000000006F90: D1000037 00F26FB2
	v_cndmask_b32_e64 v67, v178, v67, s[60:61]                 // 000000006F98: D1000043 00F287B2
	s_branch label_0C16                                        // 000000006FA0: BF82001B

0000000000006fa4 <label_0BFB>:
	s_mov_b32 s60, 64                                          // 000000006FA4: BEBC00C0
	v_and_b32_e32 v32, 15, v0                                  // 000000006FA8: 2640008F
	v_add_u32_e64 v32, v32, s60                                // 000000006FAC: D1340020 00007920
	v_mul_i32_i24_e64 v33, s46, 16                             // 000000006FB4: D1060021 0001202E
	v_add_u32_e32 v32, v32, v33                                // 000000006FBC: 68404320
	v_cmp_lt_u32_e64 s[60:61], v32, s101                       // 000000006FC0: D0C9003C 0000CB20
	s_nop 1                                                    // 000000006FC8: BF800001
	v_cndmask_b32_e64 v56, v178, v56, s[60:61]                 // 000000006FCC: D1000038 00F271B2
	v_cndmask_b32_e64 v68, v178, v68, s[60:61]                 // 000000006FD4: D1000044 00F289B2
	v_cndmask_b32_e64 v57, v178, v57, s[60:61]                 // 000000006FDC: D1000039 00F273B2
	v_cndmask_b32_e64 v69, v178, v69, s[60:61]                 // 000000006FE4: D1000045 00F28BB2
	v_cndmask_b32_e64 v58, v178, v58, s[60:61]                 // 000000006FEC: D100003A 00F275B2
	v_cndmask_b32_e64 v70, v178, v70, s[60:61]                 // 000000006FF4: D1000046 00F28DB2
	v_cndmask_b32_e64 v59, v178, v59, s[60:61]                 // 000000006FFC: D100003B 00F277B2
	v_cndmask_b32_e64 v71, v178, v71, s[60:61]                 // 000000007004: D1000047 00F28FB2
	s_branch label_0C3B                                        // 00000000700C: BF820025

0000000000007010 <label_0C16>:
	v_mov_b32_e32 v56, v178                                    // 000000007010: 7E7003B2
	v_mov_b32_e32 v68, v178                                    // 000000007014: 7E8803B2
	v_mov_b32_e32 v57, v178                                    // 000000007018: 7E7203B2
	v_mov_b32_e32 v69, v178                                    // 00000000701C: 7E8A03B2
	v_mov_b32_e32 v58, v178                                    // 000000007020: 7E7403B2
	v_mov_b32_e32 v70, v178                                    // 000000007024: 7E8C03B2
	v_mov_b32_e32 v59, v178                                    // 000000007028: 7E7603B2
	v_mov_b32_e32 v71, v178                                    // 00000000702C: 7E8E03B2
	s_branch label_0C3B                                        // 000000007030: BF82001C

0000000000007034 <label_0C1F>:
	s_mov_b32 s60, 0x80                                        // 000000007034: BEBC00FF 00000080
	v_and_b32_e32 v32, 15, v0                                  // 00000000703C: 2640008F
	v_add_u32_e64 v32, v32, s60                                // 000000007040: D1340020 00007920
	v_mul_i32_i24_e64 v33, s46, 16                             // 000000007048: D1060021 0001202E
	v_add_u32_e32 v32, v32, v33                                // 000000007050: 68404320
	v_cmp_lt_u32_e64 s[60:61], v32, s101                       // 000000007054: D0C9003C 0000CB20
	s_nop 1                                                    // 00000000705C: BF800001
	v_cndmask_b32_e64 v60, v178, v60, s[60:61]                 // 000000007060: D100003C 00F279B2
	v_cndmask_b32_e64 v72, v178, v72, s[60:61]                 // 000000007068: D1000048 00F291B2
	v_cndmask_b32_e64 v61, v178, v61, s[60:61]                 // 000000007070: D100003D 00F27BB2
	v_cndmask_b32_e64 v73, v178, v73, s[60:61]                 // 000000007078: D1000049 00F293B2
	v_cndmask_b32_e64 v62, v178, v62, s[60:61]                 // 000000007080: D100003E 00F27DB2
	v_cndmask_b32_e64 v74, v178, v74, s[60:61]                 // 000000007088: D100004A 00F295B2
	v_cndmask_b32_e64 v63, v178, v63, s[60:61]                 // 000000007090: D100003F 00F27FB2
	v_cndmask_b32_e64 v75, v178, v75, s[60:61]                 // 000000007098: D100004B 00F297B2
	s_branch label_0C44                                        // 0000000070A0: BF820009

00000000000070a4 <label_0C3B>:
	v_mov_b32_e32 v60, v178                                    // 0000000070A4: 7E7803B2
	v_mov_b32_e32 v72, v178                                    // 0000000070A8: 7E9003B2
	v_mov_b32_e32 v61, v178                                    // 0000000070AC: 7E7A03B2
	v_mov_b32_e32 v73, v178                                    // 0000000070B0: 7E9203B2
	v_mov_b32_e32 v62, v178                                    // 0000000070B4: 7E7C03B2
	v_mov_b32_e32 v74, v178                                    // 0000000070B8: 7E9403B2
	v_mov_b32_e32 v63, v178                                    // 0000000070BC: 7E7E03B2
	v_mov_b32_e32 v75, v178                                    // 0000000070C0: 7E9603B2
	s_branch label_0C44                                        // 0000000070C4: BF820000

00000000000070c8 <label_0C44>:
	s_addk_i32 s74, 0x1                                        // 0000000070C8: B74A0001
	s_waitcnt lgkmcnt(8)                                       // 0000000070CC: BF8CC87F
	s_barrier                                                  // 0000000070D0: BF8A0000
	v_mfma_f32_16x16x16_bf16 v[76:79], v[108:109], a[72:73], 0 // 0000000070D4: D3E1004C 1202916C
	ds_read_b128 a[96:99], v14 offset:4352                     // 0000000070DC: DBFE1100 6000000E
	ds_read_b128 a[100:103], v14 offset:4864                   // 0000000070E4: DBFE1300 6400000E
	v_mfma_f32_16x16x16_bf16 v[76:79], v[110:111], a[74:75], v[76:79]// 0000000070EC: D3E1004C 1532956E
	v_fma_f32 v52, v52, s57, -v140                             // 0000000070F4: D1CB0034 86307334
	v_fma_f32 v53, v53, s57, -v141                             // 0000000070FC: D1CB0035 86347335
	v_fma_f32 v54, v54, s57, -v142                             // 000000007104: D1CB0036 86387336
	v_fma_f32 v55, v55, s57, -v143                             // 00000000710C: D1CB0037 863C7337
	v_fma_f32 v56, v56, s57, -v140                             // 000000007114: D1CB0038 86307338
	v_fma_f32 v57, v57, s57, -v141                             // 00000000711C: D1CB0039 86347339
	v_mfma_f32_16x16x16_bf16 v[76:79], v[112:113], a[76:77], v[76:79]// 000000007124: D3E1004C 15329970
	v_fma_f32 v58, v58, s57, -v142                             // 00000000712C: D1CB003A 8638733A
	v_fma_f32 v59, v59, s57, -v143                             // 000000007134: D1CB003B 863C733B
	v_fma_f32 v60, v60, s57, -v140                             // 00000000713C: D1CB003C 8630733C
	v_fma_f32 v61, v61, s57, -v141                             // 000000007144: D1CB003D 8634733D
	v_fma_f32 v62, v62, s57, -v142                             // 00000000714C: D1CB003E 8638733E
	v_fma_f32 v63, v63, s57, -v143                             // 000000007154: D1CB003F 863C733F
	v_mfma_f32_16x16x16_bf16 v[76:79], v[114:115], a[78:79], v[76:79]// 00000000715C: D3E1004C 15329D72
	v_fma_f32 v64, v64, s57, -v144                             // 000000007164: D1CB0040 86407340
	v_fma_f32 v65, v65, s57, -v145                             // 00000000716C: D1CB0041 86447341
	v_fma_f32 v66, v66, s57, -v146                             // 000000007174: D1CB0042 86487342
	v_fma_f32 v67, v67, s57, -v147                             // 00000000717C: D1CB0043 864C7343
	v_fma_f32 v68, v68, s57, -v144                             // 000000007184: D1CB0044 86407344
	v_fma_f32 v69, v69, s57, -v145                             // 00000000718C: D1CB0045 86447345
	v_mfma_f32_16x16x16_bf16 v[80:83], v[108:109], a[80:81], 0 // 000000007194: D3E10050 1202A16C
	ds_read_b128 a[104:107], v14 offset:6528                   // 00000000719C: DBFE1980 6800000E
	ds_read_b128 a[108:111], v14 offset:7040                   // 0000000071A4: DBFE1B80 6C00000E
	v_mfma_f32_16x16x16_bf16 v[80:83], v[110:111], a[82:83], v[80:83]// 0000000071AC: D3E10050 1542A56E
	v_fma_f32 v70, v70, s57, -v146                             // 0000000071B4: D1CB0046 86487346
	v_fma_f32 v71, v71, s57, -v147                             // 0000000071BC: D1CB0047 864C7347
	v_fma_f32 v72, v72, s57, -v144                             // 0000000071C4: D1CB0048 86407348
	v_fma_f32 v73, v73, s57, -v145                             // 0000000071CC: D1CB0049 86447349
	v_fma_f32 v74, v74, s57, -v146                             // 0000000071D4: D1CB004A 8648734A
	v_fma_f32 v75, v75, s57, -v147                             // 0000000071DC: D1CB004B 864C734B
	v_mfma_f32_16x16x16_bf16 v[80:83], v[112:113], a[84:85], v[80:83]// 0000000071E4: D3E10050 1542A970
	v_exp_f32_e32 v52, v52                                     // 0000000071EC: 7E684134
	v_exp_f32_e32 v53, v53                                     // 0000000071F0: 7E6A4135
	v_mfma_f32_16x16x16_bf16 v[80:83], v[114:115], a[86:87], v[80:83]// 0000000071F4: D3E10050 1542AD72
	v_exp_f32_e32 v54, v54                                     // 0000000071FC: 7E6C4136
	v_exp_f32_e32 v55, v55                                     // 000000007200: 7E6E4137
	v_mfma_f32_16x16x16_bf16 v[84:87], v[108:109], a[88:89], 0 // 000000007204: D3E10054 1202B16C
	ds_read_b64 v[156:157], v21 offset:31232                   // 00000000720C: D8EC7A00 9C000015
	ds_read_b64 v[158:159], v21 offset:33280                   // 000000007214: D8EC8200 9E000015
	v_mfma_f32_16x16x16_bf16 v[84:87], v[110:111], a[90:91], v[84:87]// 00000000721C: D3E10054 1552B56E
	v_exp_f32_e32 v56, v56                                     // 000000007224: 7E704138
	v_exp_f32_e32 v57, v57                                     // 000000007228: 7E724139
	v_mfma_f32_16x16x16_bf16 v[84:87], v[112:113], a[92:93], v[84:87]// 00000000722C: D3E10054 1552B970
	ds_read_b64 v[160:161], v21 offset:35328                   // 000000007234: D8EC8A00 A0000015
	ds_read_b64 v[162:163], v21 offset:37376                   // 00000000723C: D8EC9200 A2000015
	v_mfma_f32_16x16x16_bf16 v[84:87], v[114:115], a[94:95], v[84:87]// 000000007244: D3E10054 1552BD72
	v_exp_f32_e32 v58, v58                                     // 00000000724C: 7E74413A
	v_exp_f32_e32 v59, v59                                     // 000000007250: 7E76413B
	v_mfma_f32_16x16x16_bf16 v[88:91], v[116:117], a[72:73], 0 // 000000007254: D3E10058 12029174
	v_exp_f32_e32 v60, v60                                     // 00000000725C: 7E78413C
	v_exp_f32_e32 v61, v61                                     // 000000007260: 7E7A413D
	v_mfma_f32_16x16x16_bf16 v[88:91], v[118:119], a[74:75], v[88:91]// 000000007264: D3E10058 15629576
	v_exp_f32_e32 v62, v62                                     // 00000000726C: 7E7C413E
	v_exp_f32_e32 v63, v63                                     // 000000007270: 7E7E413F
	v_mfma_f32_16x16x16_bf16 v[88:91], v[120:121], a[76:77], v[88:91]// 000000007274: D3E10058 15629978
	v_exp_f32_e32 v64, v64                                     // 00000000727C: 7E804140
	v_exp_f32_e32 v65, v65                                     // 000000007280: 7E824141
	v_mfma_f32_16x16x16_bf16 v[88:91], v[122:123], a[78:79], v[88:91]// 000000007284: D3E10058 15629D7A
	v_exp_f32_e32 v66, v66                                     // 00000000728C: 7E844142
	v_exp_f32_e32 v67, v67                                     // 000000007290: 7E864143
	v_mfma_f32_16x16x16_bf16 v[92:95], v[116:117], a[80:81], 0 // 000000007294: D3E1005C 1202A174
	v_exp_f32_e32 v68, v68                                     // 00000000729C: 7E884144
	v_exp_f32_e32 v69, v69                                     // 0000000072A0: 7E8A4145
	v_mfma_f32_16x16x16_bf16 v[92:95], v[118:119], a[82:83], v[92:95]// 0000000072A4: D3E1005C 1572A576
	v_exp_f32_e32 v70, v70                                     // 0000000072AC: 7E8C4146
	v_exp_f32_e32 v71, v71                                     // 0000000072B0: 7E8E4147
	v_mfma_f32_16x16x16_bf16 v[92:95], v[120:121], a[84:85], v[92:95]// 0000000072B4: D3E1005C 1572A978
	v_exp_f32_e32 v72, v72                                     // 0000000072BC: 7E904148
	v_exp_f32_e32 v73, v73                                     // 0000000072C0: 7E924149
	v_mfma_f32_16x16x16_bf16 v[92:95], v[122:123], a[86:87], v[92:95]// 0000000072C4: D3E1005C 1572AD7A
	v_exp_f32_e32 v74, v74                                     // 0000000072CC: 7E94414A
	v_exp_f32_e32 v75, v75                                     // 0000000072D0: 7E96414B
	v_mfma_f32_16x16x16_bf16 v[96:99], v[116:117], a[88:89], 0 // 0000000072D4: D3E10060 1202B174
	v_perm_b32 v164, v53, v52, s64                             // 0000000072DC: D1ED00A4 01026935
	v_perm_b32 v165, v55, v54, s64                             // 0000000072E4: D1ED00A5 01026D37
	v_perm_b32 v166, v57, v56, s64                             // 0000000072EC: D1ED00A6 01027139
	v_perm_b32 v167, v59, v58, s64                             // 0000000072F4: D1ED00A7 0102753B
	v_perm_b32 v168, v61, v60, s64                             // 0000000072FC: D1ED00A8 0102793D
	v_perm_b32 v169, v63, v62, s64                             // 000000007304: D1ED00A9 01027D3F
	v_mfma_f32_16x16x16_bf16 v[96:99], v[118:119], a[90:91], v[96:99]// 00000000730C: D3E10060 1582B576
	v_perm_b32 v170, v65, v64, s64                             // 000000007314: D1ED00AA 01028141
	v_perm_b32 v171, v67, v66, s64                             // 00000000731C: D1ED00AB 01028543
	v_perm_b32 v172, v69, v68, s64                             // 000000007324: D1ED00AC 01028945
	v_perm_b32 v173, v71, v70, s64                             // 00000000732C: D1ED00AD 01028D47
	v_perm_b32 v174, v73, v72, s64                             // 000000007334: D1ED00AE 01029149
	v_perm_b32 v175, v75, v74, s64                             // 00000000733C: D1ED00AF 0102954B
	v_mfma_f32_16x16x16_bf16 v[96:99], v[120:121], a[92:93], v[96:99]// 000000007344: D3E10060 1582B978
	v_add_u32_e32 v6, s66, v6                                  // 00000000734C: 680C0C42
	v_add_u32_e32 v7, s66, v7                                  // 000000007350: 680E0E42
	v_add_u32_e32 v8, s66, v8                                  // 000000007354: 68101042
	v_add_u32_e32 v9, s66, v9                                  // 000000007358: 68121242
	v_mfma_f32_16x16x16_bf16 v[96:99], v[122:123], a[94:95], v[96:99]// 00000000735C: D3E10060 1582BD7A
	s_waitcnt lgkmcnt(0)                                       // 000000007364: BF8CC07F
	s_barrier                                                  // 000000007368: BF8A0000
	v_mfma_f32_16x16x16_bf16 v[180:183], v[124:125], v[164:165], v[180:183]// 00000000736C: D3E100B4 06D3497C
	v_subrev_f32_dpp v76, v176, v76 quad_perm:[0,0,0,0] row_mask:0xf bank_mask:0xf// 000000007374: 069898FA FF0000B0
	v_subrev_f32_dpp v77, v176, v77 quad_perm:[1,1,1,1] row_mask:0xf bank_mask:0xf// 00000000737C: 069A9AFA FF0055B0
	v_subrev_f32_dpp v78, v176, v78 quad_perm:[2,2,2,2] row_mask:0xf bank_mask:0xf// 000000007384: 069C9CFA FF00AAB0
	v_subrev_f32_dpp v79, v176, v79 quad_perm:[3,3,3,3] row_mask:0xf bank_mask:0xf// 00000000738C: 069E9EFA FF00FFB0
	v_subrev_f32_dpp v80, v176, v80 quad_perm:[0,0,0,0] row_mask:0xf bank_mask:0xf// 000000007394: 06A0A0FA FF0000B0
	v_subrev_f32_dpp v81, v176, v81 quad_perm:[1,1,1,1] row_mask:0xf bank_mask:0xf// 00000000739C: 06A2A2FA FF0055B0
	v_mfma_f32_16x16x16_bf16 v[184:187], v[126:127], v[164:165], v[184:187]// 0000000073A4: D3E100B8 06E3497E
	v_subrev_f32_dpp v82, v176, v82 quad_perm:[2,2,2,2] row_mask:0xf bank_mask:0xf// 0000000073AC: 06A4A4FA FF00AAB0
	v_subrev_f32_dpp v83, v176, v83 quad_perm:[3,3,3,3] row_mask:0xf bank_mask:0xf// 0000000073B4: 06A6A6FA FF00FFB0
	v_subrev_f32_dpp v84, v176, v84 quad_perm:[0,0,0,0] row_mask:0xf bank_mask:0xf// 0000000073BC: 06A8A8FA FF0000B0
	v_subrev_f32_dpp v85, v176, v85 quad_perm:[1,1,1,1] row_mask:0xf bank_mask:0xf// 0000000073C4: 06AAAAFA FF0055B0
	v_subrev_f32_dpp v86, v176, v86 quad_perm:[2,2,2,2] row_mask:0xf bank_mask:0xf// 0000000073CC: 06ACACFA FF00AAB0
	v_subrev_f32_dpp v87, v176, v87 quad_perm:[3,3,3,3] row_mask:0xf bank_mask:0xf// 0000000073D4: 06AEAEFA FF00FFB0
	v_mfma_f32_16x16x16_bf16 v[188:191], v[128:129], v[164:165], v[188:191]// 0000000073DC: D3E100BC 06F34980
	v_mul_f32_e32 v76, v52, v76                                // 0000000073E4: 0A989934
	v_mul_f32_e32 v77, v53, v77                                // 0000000073E8: 0A9A9B35
	v_mul_f32_e32 v78, v54, v78                                // 0000000073EC: 0A9C9D36
	v_mul_f32_e32 v79, v55, v79                                // 0000000073F0: 0A9E9F37
	v_mul_f32_e32 v80, v56, v80                                // 0000000073F4: 0AA0A138
	v_mul_f32_e32 v81, v57, v81                                // 0000000073F8: 0AA2A339
	v_mfma_f32_16x16x16_bf16 v[192:195], v[130:131], v[164:165], v[192:195]// 0000000073FC: D3E100C0 07034982
	v_mul_f32_e32 v82, v58, v82                                // 000000007404: 0AA4A53A
	v_mul_f32_e32 v83, v59, v83                                // 000000007408: 0AA6A73B
	v_mul_f32_e32 v84, v60, v84                                // 00000000740C: 0AA8A93C
	v_mul_f32_e32 v85, v61, v85                                // 000000007410: 0AAAAB3D
	v_mul_f32_e32 v86, v62, v86                                // 000000007414: 0AACAD3E
	v_mul_f32_e32 v87, v63, v87                                // 000000007418: 0AAEAF3F
	v_mfma_f32_16x16x16_bf16 v[196:199], v[124:125], v[166:167], v[196:199]// 00000000741C: D3E100C4 07134D7C
	v_perm_b32 v76, v77, v76, s64                              // 000000007424: D1ED004C 0102994D
	v_perm_b32 v77, v79, v78, s64                              // 00000000742C: D1ED004D 01029D4F
	v_perm_b32 v78, v81, v80, s64                              // 000000007434: D1ED004E 0102A151
	v_perm_b32 v79, v83, v82, s64                              // 00000000743C: D1ED004F 0102A553
	v_perm_b32 v80, v85, v84, s64                              // 000000007444: D1ED0050 0102A955
	v_perm_b32 v81, v87, v86, s64                              // 00000000744C: D1ED0051 0102AD57
	v_mfma_f32_16x16x16_bf16 v[200:203], v[126:127], v[166:167], v[200:203]// 000000007454: D3E100C8 07234D7E
	v_mov_b32_dpp v18, v76 quad_perm:[1,0,3,2] row_mask:0xf bank_mask:0xf// 00000000745C: 7E2402FA FF00B14C
	v_perm_b32 v52, v18, v76, v17                              // 000000007464: D1ED0034 04469912
	v_mov_b32_dpp v18, v77 quad_perm:[1,0,3,2] row_mask:0xf bank_mask:0xf// 00000000746C: 7E2402FA FF00B14D
	v_perm_b32 v53, v18, v77, v17                              // 000000007474: D1ED0035 04469B12
	v_mov_b32_dpp v18, v78 quad_perm:[1,0,3,2] row_mask:0xf bank_mask:0xf// 00000000747C: 7E2402FA FF00B14E
	v_perm_b32 v54, v18, v78, v17                              // 000000007484: D1ED0036 04469D12
	v_mfma_f32_16x16x16_bf16 v[204:207], v[128:129], v[166:167], v[204:207]// 00000000748C: D3E100CC 07334D80
	v_mov_b32_dpp v18, v79 quad_perm:[1,0,3,2] row_mask:0xf bank_mask:0xf// 000000007494: 7E2402FA FF00B14F
	v_perm_b32 v55, v18, v79, v17                              // 00000000749C: D1ED0037 04469F12
	v_mov_b32_dpp v18, v80 quad_perm:[1,0,3,2] row_mask:0xf bank_mask:0xf// 0000000074A4: 7E2402FA FF00B150
	v_perm_b32 v56, v18, v80, v17                              // 0000000074AC: D1ED0038 0446A112
	v_mov_b32_dpp v18, v81 quad_perm:[1,0,3,2] row_mask:0xf bank_mask:0xf// 0000000074B4: 7E2402FA FF00B151
	v_perm_b32 v57, v18, v81, v17                              // 0000000074BC: D1ED0039 0446A312
	v_mfma_f32_16x16x16_bf16 v[208:211], v[130:131], v[166:167], v[208:211]// 0000000074C4: D3E100D0 07434D82
	ds_write_b32 v20, v52 offset:17408                         // 0000000074CC: D81A4400 00003414
	ds_write_b32 v20, v53 offset:17952                         // 0000000074D4: D81A4620 00003514
	v_mfma_f32_16x16x16_bf16 v[212:215], v[124:125], v[168:169], v[212:215]// 0000000074DC: D3E100D4 0753517C
	v_subrev_f32_dpp v88, v177, v88 quad_perm:[0,0,0,0] row_mask:0xf bank_mask:0xf// 0000000074E4: 06B0B0FA FF0000B1
	v_subrev_f32_dpp v89, v177, v89 quad_perm:[1,1,1,1] row_mask:0xf bank_mask:0xf// 0000000074EC: 06B2B2FA FF0055B1
	v_subrev_f32_dpp v90, v177, v90 quad_perm:[2,2,2,2] row_mask:0xf bank_mask:0xf// 0000000074F4: 06B4B4FA FF00AAB1
	v_subrev_f32_dpp v91, v177, v91 quad_perm:[3,3,3,3] row_mask:0xf bank_mask:0xf// 0000000074FC: 06B6B6FA FF00FFB1
	v_subrev_f32_dpp v92, v177, v92 quad_perm:[0,0,0,0] row_mask:0xf bank_mask:0xf// 000000007504: 06B8B8FA FF0000B1
	v_subrev_f32_dpp v93, v177, v93 quad_perm:[1,1,1,1] row_mask:0xf bank_mask:0xf// 00000000750C: 06BABAFA FF0055B1
	v_mfma_f32_16x16x16_bf16 v[216:219], v[126:127], v[168:169], v[216:219]// 000000007514: D3E100D8 0763517E
	ds_write_b32 v20, v54 offset:19712                         // 00000000751C: D81A4D00 00003614
	ds_write_b32 v20, v55 offset:20256                         // 000000007524: D81A4F20 00003714
	v_mfma_f32_16x16x16_bf16 v[220:223], v[128:129], v[168:169], v[220:223]// 00000000752C: D3E100DC 07735180
	v_subrev_f32_dpp v94, v177, v94 quad_perm:[2,2,2,2] row_mask:0xf bank_mask:0xf// 000000007534: 06BCBCFA FF00AAB1
	v_subrev_f32_dpp v95, v177, v95 quad_perm:[3,3,3,3] row_mask:0xf bank_mask:0xf// 00000000753C: 06BEBEFA FF00FFB1
	v_subrev_f32_dpp v96, v177, v96 quad_perm:[0,0,0,0] row_mask:0xf bank_mask:0xf// 000000007544: 06C0C0FA FF0000B1
	v_subrev_f32_dpp v97, v177, v97 quad_perm:[1,1,1,1] row_mask:0xf bank_mask:0xf// 00000000754C: 06C2C2FA FF0055B1
	v_subrev_f32_dpp v98, v177, v98 quad_perm:[2,2,2,2] row_mask:0xf bank_mask:0xf// 000000007554: 06C4C4FA FF00AAB1
	v_subrev_f32_dpp v99, v177, v99 quad_perm:[3,3,3,3] row_mask:0xf bank_mask:0xf// 00000000755C: 06C6C6FA FF00FFB1
	v_mfma_f32_16x16x16_bf16 v[224:227], v[130:131], v[168:169], v[224:227]// 000000007564: D3E100E0 07835182
	ds_write_b32 v20, v56 offset:22016                         // 00000000756C: D81A5600 00003814
	ds_write_b32 v20, v57 offset:22560                         // 000000007574: D81A5820 00003914
	v_mfma_f32_16x16x16_bf16 v[180:183], v[132:133], v[170:171], v[180:183]// 00000000757C: D3E100B4 06D35584
	v_mul_f32_e32 v88, v64, v88                                // 000000007584: 0AB0B140
	v_mul_f32_e32 v89, v65, v89                                // 000000007588: 0AB2B341
	v_mul_f32_e32 v90, v66, v90                                // 00000000758C: 0AB4B542
	v_mul_f32_e32 v91, v67, v91                                // 000000007590: 0AB6B743
	v_mul_f32_e32 v92, v68, v92                                // 000000007594: 0AB8B944
	v_mul_f32_e32 v93, v69, v93                                // 000000007598: 0ABABB45
	v_mfma_f32_16x16x16_bf16 v[184:187], v[134:135], v[170:171], v[184:187]// 00000000759C: D3E100B8 06E35586
	v_mul_f32_e32 v94, v70, v94                                // 0000000075A4: 0ABCBD46
	v_mul_f32_e32 v95, v71, v95                                // 0000000075A8: 0ABEBF47
	v_mul_f32_e32 v96, v72, v96                                // 0000000075AC: 0AC0C148
	v_mul_f32_e32 v97, v73, v97                                // 0000000075B0: 0AC2C349
	v_mul_f32_e32 v98, v74, v98                                // 0000000075B4: 0AC4C54A
	v_mul_f32_e32 v99, v75, v99                                // 0000000075B8: 0AC6C74B
	v_mfma_f32_16x16x16_bf16 v[188:191], v[136:137], v[170:171], v[188:191]// 0000000075BC: D3E100BC 06F35588
	v_perm_b32 v82, v89, v88, s64                              // 0000000075C4: D1ED0052 0102B159
	v_perm_b32 v83, v91, v90, s64                              // 0000000075CC: D1ED0053 0102B55B
	v_perm_b32 v84, v93, v92, s64                              // 0000000075D4: D1ED0054 0102B95D
	v_perm_b32 v85, v95, v94, s64                              // 0000000075DC: D1ED0055 0102BD5F
	v_perm_b32 v86, v97, v96, s64                              // 0000000075E4: D1ED0056 0102C161
	v_perm_b32 v87, v99, v98, s64                              // 0000000075EC: D1ED0057 0102C563
	v_mfma_f32_16x16x16_bf16 v[192:195], v[138:139], v[170:171], v[192:195]// 0000000075F4: D3E100C0 0703558A
	v_mov_b32_dpp v18, v82 quad_perm:[1,0,3,2] row_mask:0xf bank_mask:0xf// 0000000075FC: 7E2402FA FF00B152
	v_perm_b32 v58, v18, v82, v17                              // 000000007604: D1ED003A 0446A512
	v_mov_b32_dpp v18, v83 quad_perm:[1,0,3,2] row_mask:0xf bank_mask:0xf// 00000000760C: 7E2402FA FF00B153
	v_perm_b32 v59, v18, v83, v17                              // 000000007614: D1ED003B 0446A712
	v_mov_b32_dpp v18, v84 quad_perm:[1,0,3,2] row_mask:0xf bank_mask:0xf// 00000000761C: 7E2402FA FF00B154
	v_perm_b32 v60, v18, v84, v17                              // 000000007624: D1ED003C 0446A912
	v_mfma_f32_16x16x16_bf16 v[196:199], v[132:133], v[172:173], v[196:199]// 00000000762C: D3E100C4 07135984
	v_mov_b32_dpp v18, v85 quad_perm:[1,0,3,2] row_mask:0xf bank_mask:0xf// 000000007634: 7E2402FA FF00B155
	v_perm_b32 v61, v18, v85, v17                              // 00000000763C: D1ED003D 0446AB12
	v_mov_b32_dpp v18, v86 quad_perm:[1,0,3,2] row_mask:0xf bank_mask:0xf// 000000007644: 7E2402FA FF00B156
	v_perm_b32 v62, v18, v86, v17                              // 00000000764C: D1ED003E 0446AD12
	v_mov_b32_dpp v18, v87 quad_perm:[1,0,3,2] row_mask:0xf bank_mask:0xf// 000000007654: 7E2402FA FF00B157
	v_perm_b32 v63, v18, v87, v17                              // 00000000765C: D1ED003F 0446AF12
	v_mfma_f32_16x16x16_bf16 v[200:203], v[134:135], v[172:173], v[200:203]// 000000007664: D3E100C8 07235986
	ds_write_b32 v20, v58 offset:24320                         // 00000000766C: D81A5F00 00003A14
	ds_write_b32 v20, v59 offset:24864                         // 000000007674: D81A6120 00003B14
	v_mfma_f32_16x16x16_bf16 v[204:207], v[136:137], v[172:173], v[204:207]// 00000000767C: D3E100CC 07335988
	v_mfma_f32_16x16x16_bf16 v[208:211], v[138:139], v[172:173], v[208:211]// 000000007684: D3E100D0 0743598A
	ds_write_b32 v20, v60 offset:26624                         // 00000000768C: D81A6800 00003C14
	ds_write_b32 v20, v61 offset:27168                         // 000000007694: D81A6A20 00003D14
	ds_write_b32 v20, v62 offset:28928                         // 00000000769C: D81A7100 00003E14
	ds_write_b32 v20, v63 offset:29472                         // 0000000076A4: D81A7320 00003F14
	v_mfma_f32_16x16x16_bf16 v[212:215], v[132:133], v[174:175], v[212:215]// 0000000076AC: D3E100D4 07535D84
	v_mfma_f32_16x16x16_bf16 v[216:219], v[134:135], v[174:175], v[216:219]// 0000000076B4: D3E100D8 07635D86
	ds_write_b32 v15, v100 offset:4352                         // 0000000076BC: D81A1100 0000640F
	ds_write_b32 v15, v101 offset:5408                         // 0000000076C4: D81A1520 0000650F
	v_mfma_f32_16x16x16_bf16 v[220:223], v[136:137], v[174:175], v[220:223]// 0000000076CC: D3E100DC 07735D88
	s_nop 0                                                    // 0000000076D4: BF800000
	s_nop 0                                                    // 0000000076D8: BF800000
	s_nop 0                                                    // 0000000076DC: BF800000
	v_mfma_f32_16x16x16_bf16 v[224:227], v[138:139], v[174:175], v[224:227]// 0000000076E0: D3E100E0 07835D8A
	ds_write_b32 v15, v102 offset:6528                         // 0000000076E8: D81A1980 0000660F
	ds_write_b32 v15, v103 offset:7584                         // 0000000076F0: D81A1DA0 0000670F
	s_barrier                                                  // 0000000076F8: BF8A0000
	v_mfma_f32_16x16x16_bf16 a[112:115], a[96:97], v[76:77], a[112:115]// 0000000076FC: D3E18070 0DC29960
	buffer_atomic_add_f32 v156, v6, s[32:35], 0 idxen          // 000000007704: E1342000 80089C06
	v_mfma_f32_16x16x16_bf16 a[116:119], a[98:99], v[76:77], a[116:119]// 00000000770C: D3E18074 0DD29962
	ds_read_b32 v140, v23 offset:39424                         // 000000007714: D86C9A00 8C000017
	ds_read_b32 v144, v23 offset:39488                         // 00000000771C: D86C9A40 90000017
	ds_read_b32 v176, v23 offset:39680                         // 000000007724: D86C9B00 B0000017
	ds_read_b32 v177, v23 offset:39744                         // 00000000772C: D86C9B40 B1000017
	v_mfma_f32_16x16x16_bf16 a[120:123], a[100:101], v[76:77], a[120:123]// 000000007734: D3E18078 0DE29964
	s_waitcnt lgkmcnt(8)                                       // 00000000773C: BF8CC87F
	s_barrier                                                  // 000000007740: BF8A0000
	v_mfma_f32_16x16x16_bf16 a[124:127], a[102:103], v[76:77], a[124:127]// 000000007744: D3E1807C 0DF29966
	ds_read_b128 v[52:55], v19 offset:17408                    // 00000000774C: D9FE4400 34000013
	v_mfma_f32_16x16x16_bf16 a[128:131], a[96:97], v[78:79], a[128:131]// 000000007754: D3E18080 0E029D60
	v_mfma_f32_16x16x16_bf16 a[132:135], a[98:99], v[78:79], a[132:135]// 00000000775C: D3E18084 0E129D62
	ds_read_b128 v[56:59], v19 offset:18560                    // 000000007764: D9FE4880 38000013
	v_mfma_f32_16x16x16_bf16 a[136:139], a[100:101], v[78:79], a[136:139]// 00000000776C: D3E18088 0E229D64
	buffer_atomic_add_f32 v157, v7, s[32:35], 0 idxen          // 000000007774: E1342000 80089D07
	v_mfma_f32_16x16x16_bf16 a[140:143], a[102:103], v[78:79], a[140:143]// 00000000777C: D3E1808C 0E329D66
	ds_read_b128 v[60:63], v19 offset:19712                    // 000000007784: D9FE4D00 3C000013
	v_mfma_f32_16x16x16_bf16 a[144:147], a[96:97], v[80:81], a[144:147]// 00000000778C: D3E18090 0E42A160
	v_mfma_f32_16x16x16_bf16 a[148:151], a[98:99], v[80:81], a[148:151]// 000000007794: D3E18094 0E52A162
	ds_read_b128 v[64:67], v19 offset:20864                    // 00000000779C: D9FE5180 40000013
	v_mfma_f32_16x16x16_bf16 a[152:155], a[100:101], v[80:81], a[152:155]// 0000000077A4: D3E18098 0E62A164
	v_mfma_f32_16x16x16_bf16 a[156:159], a[102:103], v[80:81], a[156:159]// 0000000077AC: D3E1809C 0E72A166
	ds_read_b128 v[68:71], v19 offset:22016                    // 0000000077B4: D9FE5600 44000013
	v_mfma_f32_16x16x16_bf16 a[112:115], a[104:105], v[82:83], a[112:115]// 0000000077BC: D3E18070 0DC2A568
	buffer_atomic_add_f32 v158, v6, s[32:35], 0 idxen offset:128// 0000000077C4: E1342080 80089E06
	v_mfma_f32_16x16x16_bf16 a[116:119], a[106:107], v[82:83], a[116:119]// 0000000077CC: D3E18074 0DD2A56A
	ds_read_b128 v[72:75], v19 offset:23168                    // 0000000077D4: D9FE5A80 48000013
	v_mfma_f32_16x16x16_bf16 a[120:123], a[108:109], v[82:83], a[120:123]// 0000000077DC: D3E18078 0DE2A56C
	v_mfma_f32_16x16x16_bf16 a[124:127], a[110:111], v[82:83], a[124:127]// 0000000077E4: D3E1807C 0DF2A56E
	ds_write_b32 v15, v104 offset:13056                        // 0000000077EC: D81A3300 0000680F
	v_mfma_f32_16x16x16_bf16 a[128:131], a[104:105], v[84:85], a[128:131]// 0000000077F4: D3E18080 0E02A968
	v_mfma_f32_16x16x16_bf16 a[132:135], a[106:107], v[84:85], a[132:135]// 0000000077FC: D3E18084 0E12A96A
	ds_write_b32 v15, v105 offset:14112                        // 000000007804: D81A3720 0000690F
	v_mfma_f32_16x16x16_bf16 a[136:139], a[108:109], v[84:85], a[136:139]// 00000000780C: D3E18088 0E22A96C
	buffer_atomic_add_f32 v159, v7, s[32:35], 0 idxen offset:128// 000000007814: E1342080 80089F07
	v_mfma_f32_16x16x16_bf16 a[140:143], a[110:111], v[84:85], a[140:143]// 00000000781C: D3E1808C 0E32A96E
	ds_write_b32 v15, v106 offset:15232                        // 000000007824: D81A3B80 00006A0F
	v_mfma_f32_16x16x16_bf16 a[144:147], a[104:105], v[86:87], a[144:147]// 00000000782C: D3E18090 0E42AD68
	v_mfma_f32_16x16x16_bf16 a[148:151], a[106:107], v[86:87], a[148:151]// 000000007834: D3E18094 0E52AD6A
	ds_write_b32 v15, v107 offset:16288                        // 00000000783C: D81A3FA0 00006B0F
	v_mfma_f32_16x16x16_bf16 a[152:155], a[108:109], v[86:87], a[152:155]// 000000007844: D3E18098 0E62AD6C
	v_mfma_f32_16x16x16_bf16 a[156:159], a[110:111], v[86:87], a[156:159]// 00000000784C: D3E1809C 0E72AD6E
	s_waitcnt vmcnt(8) lgkmcnt(4)                              // 000000007854: BF8C0478
	s_barrier                                                  // 000000007858: BF8A0000
	v_mfma_f32_16x16x16_bf16 v[148:151], v[52:53], a[24:25], 0 // 00000000785C: D3E10094 12023134
	v_mul_f32_e32 v140, s48, v140                              // 000000007864: 0B191830
	v_mul_f32_e32 v144, s48, v144                              // 000000007868: 0B212030
	s_nop 0                                                    // 00000000786C: BF800000
	v_mfma_f32_16x16x16_bf16 v[148:151], v[54:55], a[28:29], v[148:151]// 000000007870: D3E10094 16523936
	ds_read_b128 a[96:99], v12                                 // 000000007878: DBFE0000 6000000C
	buffer_load_dword v36, v1, s[8:11], 0 idxen                // 000000007880: E0502000 80022401
	v_mfma_f32_16x16x16_bf16 v[148:151], v[56:57], a[32:33], v[148:151]// 000000007888: D3E10094 16524138
	v_mfma_f32_16x16x16_bf16 v[148:151], v[58:59], a[36:37], v[148:151]// 000000007890: D3E10094 1652493A
	ds_read_b128 a[100:103], v12 offset:512                    // 000000007898: DBFE0200 6400000C
	buffer_load_dword v37, v2, s[8:11], 0 idxen                // 0000000078A0: E0502000 80022502
	v_mfma_f32_16x16x16_bf16 v[148:151], v[60:61], a[40:41], v[148:151]// 0000000078A8: D3E10094 1652513C
	v_perm_b32 v100, v41, v40, s63                             // 0000000078B0: D1ED0064 00FE5129
	v_perm_b32 v101, v41, v40, s64                             // 0000000078B8: D1ED0065 01025129
	v_mfma_f32_16x16x16_bf16 v[148:151], v[62:63], a[44:45], v[148:151]// 0000000078C0: D3E10094 1652593E
	ds_read_b128 a[104:107], v12 offset:2176                   // 0000000078C8: DBFE0880 6800000C
	buffer_load_dword v38, v3, s[8:11], 0 idxen                // 0000000078D0: E0502000 80022603
	v_mfma_f32_16x16x16_bf16 v[148:151], v[64:65], a[48:49], v[148:151]// 0000000078D8: D3E10094 16526140
	v_perm_b32 v102, v43, v42, s63                             // 0000000078E0: D1ED0066 00FE552B
	v_perm_b32 v103, v43, v42, s64                             // 0000000078E8: D1ED0067 0102552B
	v_mfma_f32_16x16x16_bf16 v[148:151], v[66:67], a[52:53], v[148:151]// 0000000078F0: D3E10094 16526942
	ds_read_b128 a[108:111], v12 offset:2688                   // 0000000078F8: DBFE0A80 6C00000C
	buffer_load_dword v39, v4, s[8:11], 0 idxen                // 000000007900: E0502000 80022704
	v_mfma_f32_16x16x16_bf16 v[148:151], v[68:69], a[56:57], v[148:151]// 000000007908: D3E10094 16527144
	v_perm_b32 v104, v49, v48, s63                             // 000000007910: D1ED0068 00FE6131
	v_perm_b32 v105, v49, v48, s64                             // 000000007918: D1ED0069 01026131
	v_mfma_f32_16x16x16_bf16 v[148:151], v[70:71], a[60:61], v[148:151]// 000000007920: D3E10094 16527946
	ds_read_b128 v[108:111], v12 offset:8704                   // 000000007928: D9FE2200 6C00000C
	buffer_load_dword v44, v232, s[20:23], 0 idxen             // 000000007930: E0502000 80052CE8
	v_mfma_f32_16x16x16_bf16 v[148:151], v[72:73], a[64:65], v[148:151]// 000000007938: D3E10094 16528148
	v_perm_b32 v106, v51, v50, s63                             // 000000007940: D1ED006A 00FE6533
	v_perm_b32 v107, v51, v50, s64                             // 000000007948: D1ED006B 01026533
	v_mfma_f32_16x16x16_bf16 v[148:151], v[74:75], a[68:69], v[148:151]// 000000007950: D3E10094 1652894A
	ds_read_b128 v[112:115], v12 offset:9216                   // 000000007958: D9FE2400 7000000C
	buffer_load_dword v45, v233, s[20:23], 0 idxen             // 000000007960: E0502000 80052DE9
	v_mfma_f32_16x16x16_bf16 v[152:155], v[52:53], a[26:27], 0 // 000000007968: D3E10098 12023534
	v_mov_b32_dpp v143, v140 quad_perm:[3,3,3,3] row_mask:0xf bank_mask:0xf// 000000007970: 7F1E02FA FF00FF8C
	v_mov_b32_dpp v142, v140 quad_perm:[2,2,2,2] row_mask:0xf bank_mask:0xf// 000000007978: 7F1C02FA FF00AA8C
	v_mov_b32_dpp v141, v140 quad_perm:[1,1,1,1] row_mask:0xf bank_mask:0xf// 000000007980: 7F1A02FA FF00558C
	v_mov_b32_dpp v140, v140 quad_perm:[0,0,0,0] row_mask:0xf bank_mask:0xf// 000000007988: 7F1802FA FF00008C
	v_mfma_f32_16x16x16_bf16 v[152:155], v[54:55], a[30:31], v[152:155]// 000000007990: D3E10098 16623D36
	ds_read_b128 v[116:119], v12 offset:10880                  // 000000007998: D9FE2A80 7400000C
	buffer_load_dword v46, v234, s[20:23], 0 idxen             // 0000000079A0: E0502000 80052EEA
	v_mfma_f32_16x16x16_bf16 v[152:155], v[56:57], a[34:35], v[152:155]// 0000000079A8: D3E10098 16624538
	v_mov_b32_dpp v147, v144 quad_perm:[3,3,3,3] row_mask:0xf bank_mask:0xf// 0000000079B0: 7F2602FA FF00FF90
	v_mov_b32_dpp v146, v144 quad_perm:[2,2,2,2] row_mask:0xf bank_mask:0xf// 0000000079B8: 7F2402FA FF00AA90
	v_mov_b32_dpp v145, v144 quad_perm:[1,1,1,1] row_mask:0xf bank_mask:0xf// 0000000079C0: 7F2202FA FF005590
	v_mov_b32_dpp v144, v144 quad_perm:[0,0,0,0] row_mask:0xf bank_mask:0xf// 0000000079C8: 7F2002FA FF000090
	s_add_u32 s60, 0x80, s59                                   // 0000000079D0: 803C3BFF 00000080
	v_mfma_f32_16x16x16_bf16 v[152:155], v[58:59], a[38:39], v[152:155]// 0000000079D8: D3E10098 16624D3A
	ds_read_b128 v[120:123], v12 offset:11392                  // 0000000079E0: D9FE2C80 7800000C
	buffer_load_dword v47, v235, s[20:23], 0 idxen             // 0000000079E8: E0502000 80052FEB
	v_mfma_f32_16x16x16_bf16 v[152:155], v[60:61], a[42:43], v[152:155]// 0000000079F0: D3E10098 1662553C
	s_cmp_lt_u32 s60, s58                                      // 0000000079F8: BF0A3A3C
	s_cselect_b32 s68, s68, 0                                  // 0000000079FC: 85448044
	s_cselect_b32 s99, s99, 0                                  // 000000007A00: 85638063
	s_cselect_b32 s69, s69, 0                                  // 000000007A04: 85458045
	v_mfma_f32_16x16x16_bf16 v[152:155], v[62:63], a[46:47], v[152:155]// 000000007A08: D3E10098 16625D3E
	buffer_load_dword v11, s[24:27], 0 idxen lds               // 000000007A10: E0512000 8006000B
	v_mfma_f32_16x16x16_bf16 v[152:155], v[64:65], a[50:51], v[152:155]// 000000007A18: D3E10098 16626540
	v_add_u32_e32 v1, s68, v1                                  // 000000007A20: 68020244
	v_add_u32_e32 v2, s68, v2                                  // 000000007A24: 68040444
	v_add_u32_e32 v3, s68, v3                                  // 000000007A28: 68060644
	v_add_u32_e32 v4, s68, v4                                  // 000000007A2C: 68080844
	v_mfma_f32_16x16x16_bf16 v[152:155], v[66:67], a[54:55], v[152:155]// 000000007A30: D3E10098 16626D42
	v_add_u32_e32 v232, s99, v232                              // 000000007A38: 69D1D063
	v_add_u32_e32 v233, s99, v233                              // 000000007A3C: 69D3D263
	v_add_u32_e32 v234, s99, v234                              // 000000007A40: 69D5D463
	v_add_u32_e32 v235, s99, v235                              // 000000007A44: 69D7D663
	v_mfma_f32_16x16x16_bf16 v[152:155], v[68:69], a[58:59], v[152:155]// 000000007A48: D3E10098 16627544
	s_mov_b32 m0, s81                                          // 000000007A50: BEFC0051
	v_add_u32_e32 v11, s69, v11                                // 000000007A54: 68161645
	v_mfma_f32_16x16x16_bf16 v[152:155], v[70:71], a[62:63], v[152:155]// 000000007A58: D3E10098 16627D46
	s_cmp_ge_u32 s59, s73                                      // 000000007A60: BF09493B
	s_cselect_b32 s66, s67, s66                                // 000000007A64: 85424243
	v_mfma_f32_16x16x16_bf16 v[152:155], v[72:73], a[66:67], v[152:155]// 000000007A68: D3E10098 16628548
	s_addk_i32 s59, 0x20                                       // 000000007A70: B73B0020
	s_nop 0                                                    // 000000007A74: BF800000
	s_cmp_lt_i32 s59, s58                                      // 000000007A78: BF043A3B
	v_mfma_f32_16x16x16_bf16 v[152:155], v[74:75], a[70:71], v[152:155]// 000000007A7C: D3E10098 16628D4A
	s_cbranch_scc0 label_0EB5                                  // 000000007A84: BF840001
	s_branch label_064E                                        // 000000007A88: BF82F7AB

0000000000007a8c <label_0EB5>:
	s_nop 0                                                    // 000000007A8C: BF800000
	s_nop 0                                                    // 000000007A90: BF800000
	s_branch label_171F                                        // 000000007A94: BF820855

0000000000007a98 <label_0EB8>:
	s_waitcnt lgkmcnt(0)                                       // 000000007A98: BF8CC07F
	s_barrier                                                  // 000000007A9C: BF8A0000
	v_mfma_f32_16x16x16_bf16 v[52:55], a[96:97], a[0:1], 0     // 000000007AA0: D3E10034 1A020160
	v_mul_f32_e32 v148, s47, v148                              // 000000007AA8: 0B29282F
	v_mul_f32_e32 v149, s47, v149                              // 000000007AAC: 0B2B2A2F
	v_mfma_f32_16x16x16_bf16 v[52:55], a[98:99], a[2:3], v[52:55]// 000000007AB0: D3E10034 1CD20562
	ds_write_b32 v13, v48 offset:8704                          // 000000007AB8: D81A2200 0000300D
	ds_write_b32 v13, v49 offset:9760                          // 000000007AC0: D81A2620 0000310D
	v_mfma_f32_16x16x16_bf16 v[52:55], a[100:101], a[4:5], v[52:55]// 000000007AC8: D3E10034 1CD20964
	v_mul_f32_e32 v150, s47, v150                              // 000000007AD0: 0B2D2C2F
	v_mul_f32_e32 v151, s47, v151                              // 000000007AD4: 0B2F2E2F
	v_mfma_f32_16x16x16_bf16 v[52:55], a[102:103], a[6:7], v[52:55]// 000000007AD8: D3E10034 1CD20D66
	ds_write_b32 v13, v50 offset:10880                         // 000000007AE0: D81A2A80 0000320D
	ds_write_b32 v13, v51 offset:11936                         // 000000007AE8: D81A2EA0 0000330D
	v_mfma_f32_16x16x16_bf16 v[56:59], a[96:97], a[8:9], 0     // 000000007AF0: D3E10038 1A021160
	v_mul_f32_e32 v152, s47, v152                              // 000000007AF8: 0B31302F
	v_mul_f32_e32 v153, s47, v153                              // 000000007AFC: 0B33322F
	v_mfma_f32_16x16x16_bf16 v[56:59], a[98:99], a[10:11], v[56:59]// 000000007B00: D3E10038 1CE21562
	ds_write_b64 v22, v[148:149] offset:31232                  // 000000007B08: D89A7A00 00009416
	v_mfma_f32_16x16x16_bf16 v[56:59], a[100:101], a[12:13], v[56:59]// 000000007B10: D3E10038 1CE21964
	v_mul_f32_e32 v154, s47, v154                              // 000000007B18: 0B35342F
	v_mul_f32_e32 v155, s47, v155                              // 000000007B1C: 0B37362F
	v_mfma_f32_16x16x16_bf16 v[56:59], a[102:103], a[14:15], v[56:59]// 000000007B20: D3E10038 1CE21D66
	ds_write_b64 v22, v[150:151] offset:31744                  // 000000007B28: D89A7C00 00009616
	v_mfma_f32_16x16x16_bf16 v[60:63], a[96:97], a[16:17], 0   // 000000007B30: D3E1003C 1A022160
	buffer_atomic_add_f32 v160, v8, s[32:35], 0 idxen          // 000000007B38: E1342000 8008A008
	v_mfma_f32_16x16x16_bf16 v[60:63], a[98:99], a[18:19], v[60:63]// 000000007B40: D3E1003C 1CF22562
	ds_write_b64 v22, v[152:153] offset:32256                  // 000000007B48: D89A7E00 00009816
	v_mfma_f32_16x16x16_bf16 v[60:63], a[100:101], a[20:21], v[60:63]// 000000007B50: D3E1003C 1CF22964
	v_mfma_f32_16x16x16_bf16 v[60:63], a[102:103], a[22:23], v[60:63]// 000000007B58: D3E1003C 1CF22D66
	ds_write_b64 v22, v[154:155] offset:32768                  // 000000007B60: D89A8000 00009A16
	v_mfma_f32_16x16x16_bf16 v[64:67], a[104:105], a[0:1], 0   // 000000007B68: D3E10040 1A020168
	buffer_atomic_add_f32 v161, v9, s[32:35], 0 idxen          // 000000007B70: E1342000 8008A109
	v_mfma_f32_16x16x16_bf16 v[64:67], a[106:107], a[2:3], v[64:67]// 000000007B78: D3E10040 1D02056A
	ds_read_b128 v[124:127], v14 offset:13056                  // 000000007B80: D9FE3300 7C00000E
	ds_write_b32 v13, v40                                      // 000000007B88: D81A0000 0000280D
	v_mfma_f32_16x16x16_bf16 v[64:67], a[108:109], a[4:5], v[64:67]// 000000007B90: D3E10040 1D02096C
	v_mfma_f32_16x16x16_bf16 v[64:67], a[110:111], a[6:7], v[64:67]// 000000007B98: D3E10040 1D020D6E
	v_mfma_f32_16x16x16_bf16 v[68:71], a[104:105], a[8:9], 0   // 000000007BA0: D3E10044 1A021168
	ds_read_b128 v[128:131], v14 offset:13568                  // 000000007BA8: D9FE3500 8000000E
	ds_write_b32 v13, v41 offset:1056                          // 000000007BB0: D81A0420 0000290D
	v_mfma_f32_16x16x16_bf16 v[68:71], a[106:107], a[10:11], v[68:71]// 000000007BB8: D3E10044 1D12156A
	buffer_atomic_add_f32 v162, v8, s[32:35], 0 idxen offset:128// 000000007BC0: E1342080 8008A208
	v_mfma_f32_16x16x16_bf16 v[68:71], a[108:109], a[12:13], v[68:71]// 000000007BC8: D3E10044 1D12196C
	v_mfma_f32_16x16x16_bf16 v[68:71], a[110:111], a[14:15], v[68:71]// 000000007BD0: D3E10044 1D121D6E
	ds_read_b128 v[132:135], v14 offset:15232                  // 000000007BD8: D9FE3B80 8400000E
	ds_write_b32 v13, v42 offset:2176                          // 000000007BE0: D81A0880 00002A0D
	v_mfma_f32_16x16x16_bf16 v[72:75], a[104:105], a[16:17], 0 // 000000007BE8: D3E10048 1A022168
	v_mfma_f32_16x16x16_bf16 v[72:75], a[106:107], a[18:19], v[72:75]// 000000007BF0: D3E10048 1D22256A
	buffer_atomic_add_f32 v163, v9, s[32:35], 0 idxen offset:128// 000000007BF8: E1342080 8008A309
	v_mfma_f32_16x16x16_bf16 v[72:75], a[108:109], a[20:21], v[72:75]// 000000007C00: D3E10048 1D22296C
	ds_read_b128 v[136:139], v14 offset:15744                  // 000000007C08: D9FE3D80 8800000E
	ds_write_b32 v13, v43 offset:3232                          // 000000007C10: D81A0CA0 00002B0D
	v_mfma_f32_16x16x16_bf16 v[72:75], a[110:111], a[22:23], v[72:75]// 000000007C18: D3E10048 1D222D6E
	s_cmp_lt_i32 s74, 12                                       // 000000007C20: BF048C4A
	s_cbranch_scc0 label_1002                                  // 000000007C24: BF8400E6
	s_mov_b32 s60, 0xffe0fffe                                  // 000000007C28: BEBC00FF FFE0FFFE
	s_mov_b32 s61, 0xe000fe00                                  // 000000007C30: BEBD00FF E000FE00
	s_nop 0                                                    // 000000007C38: BF800000
	s_add_u32 s62, 0, s46                                      // 000000007C3C: 803E2E80
	s_cmp_lt_i32 s74, s62                                      // 000000007C40: BF043E4A
	s_cbranch_scc1 label_0F4C                                  // 000000007C44: BF850028
	s_cmp_eq_i32 s74, s62                                      // 000000007C48: BF003E4A
	s_cbranch_scc1 label_0F31                                  // 000000007C4C: BF85000B
	s_add_u32 s62, 4, s46                                      // 000000007C50: 803E2E84
	s_cmp_lt_i32 s74, s62                                      // 000000007C54: BF043E4A
	s_cbranch_scc1 label_0F6C                                  // 000000007C58: BF850043
	s_cmp_eq_i32 s74, s62                                      // 000000007C5C: BF003E4A
	s_cbranch_scc1 label_0F51                                  // 000000007C60: BF850026
	s_add_u32 s62, 8, s46                                      // 000000007C64: 803E2E88
	s_cmp_lt_i32 s74, s62                                      // 000000007C68: BF043E4A
	s_cbranch_scc1 label_0F8C                                  // 000000007C6C: BF85005E
	s_cmp_eq_i32 s74, s62                                      // 000000007C70: BF003E4A
	s_cbranch_scc1 label_0F71                                  // 000000007C74: BF850041
	s_branch label_0F91                                        // 000000007C78: BF820060

0000000000007c7c <label_0F31>:
	v_cndmask_b32_e64 v52, v52, v178, s[60:61]                 // 000000007C7C: D1000034 00F36534
	s_lshl_b32 s60, s60, 1                                     // 000000007C84: 8E3C813C
	s_lshl_b32 s61, s61, 1                                     // 000000007C88: 8E3D813D
	s_and_b32 s60, 0xfffeffff, s60                             // 000000007C8C: 863C3CFF FFFEFFFF
	s_and_b32 s61, 0xfffeffff, s61                             // 000000007C94: 863D3DFF FFFEFFFF
	v_cndmask_b32_e64 v53, v53, v178, s[60:61]                 // 000000007C9C: D1000035 00F36535
	s_lshl_b32 s60, s60, 1                                     // 000000007CA4: 8E3C813C
	s_lshl_b32 s61, s61, 1                                     // 000000007CA8: 8E3D813D
	s_and_b32 s60, 0xfffeffff, s60                             // 000000007CAC: 863C3CFF FFFEFFFF
	s_and_b32 s61, 0xfffeffff, s61                             // 000000007CB4: 863D3DFF FFFEFFFF
	v_cndmask_b32_e64 v54, v54, v178, s[60:61]                 // 000000007CBC: D1000036 00F36536
	s_lshl_b32 s60, s60, 1                                     // 000000007CC4: 8E3C813C
	s_lshl_b32 s61, s61, 1                                     // 000000007CC8: 8E3D813D
	s_and_b32 s60, 0xfffeffff, s60                             // 000000007CCC: 863C3CFF FFFEFFFF
	s_and_b32 s61, 0xfffeffff, s61                             // 000000007CD4: 863D3DFF FFFEFFFF
	v_cndmask_b32_e64 v55, v55, v178, s[60:61]                 // 000000007CDC: D1000037 00F36537
	s_branch label_0F6C                                        // 000000007CE4: BF820020

0000000000007ce8 <label_0F4C>:
	v_mov_b32_e32 v52, v178                                    // 000000007CE8: 7E6803B2
	v_mov_b32_e32 v53, v178                                    // 000000007CEC: 7E6A03B2
	v_mov_b32_e32 v54, v178                                    // 000000007CF0: 7E6C03B2
	v_mov_b32_e32 v55, v178                                    // 000000007CF4: 7E6E03B2
	s_branch label_0F6C                                        // 000000007CF8: BF82001B

0000000000007cfc <label_0F51>:
	v_cndmask_b32_e64 v56, v56, v178, s[60:61]                 // 000000007CFC: D1000038 00F36538
	s_lshl_b32 s60, s60, 1                                     // 000000007D04: 8E3C813C
	s_lshl_b32 s61, s61, 1                                     // 000000007D08: 8E3D813D
	s_and_b32 s60, 0xfffeffff, s60                             // 000000007D0C: 863C3CFF FFFEFFFF
	s_and_b32 s61, 0xfffeffff, s61                             // 000000007D14: 863D3DFF FFFEFFFF
	v_cndmask_b32_e64 v57, v57, v178, s[60:61]                 // 000000007D1C: D1000039 00F36539
	s_lshl_b32 s60, s60, 1                                     // 000000007D24: 8E3C813C
	s_lshl_b32 s61, s61, 1                                     // 000000007D28: 8E3D813D
	s_and_b32 s60, 0xfffeffff, s60                             // 000000007D2C: 863C3CFF FFFEFFFF
	s_and_b32 s61, 0xfffeffff, s61                             // 000000007D34: 863D3DFF FFFEFFFF
	v_cndmask_b32_e64 v58, v58, v178, s[60:61]                 // 000000007D3C: D100003A 00F3653A
	s_lshl_b32 s60, s60, 1                                     // 000000007D44: 8E3C813C
	s_lshl_b32 s61, s61, 1                                     // 000000007D48: 8E3D813D
	s_and_b32 s60, 0xfffeffff, s60                             // 000000007D4C: 863C3CFF FFFEFFFF
	s_and_b32 s61, 0xfffeffff, s61                             // 000000007D54: 863D3DFF FFFEFFFF
	v_cndmask_b32_e64 v59, v59, v178, s[60:61]                 // 000000007D5C: D100003B 00F3653B
	s_branch label_0F8C                                        // 000000007D64: BF820020

0000000000007d68 <label_0F6C>:
	v_mov_b32_e32 v56, v178                                    // 000000007D68: 7E7003B2
	v_mov_b32_e32 v57, v178                                    // 000000007D6C: 7E7203B2
	v_mov_b32_e32 v58, v178                                    // 000000007D70: 7E7403B2
	v_mov_b32_e32 v59, v178                                    // 000000007D74: 7E7603B2
	s_branch label_0F8C                                        // 000000007D78: BF82001B

0000000000007d7c <label_0F71>:
	v_cndmask_b32_e64 v60, v60, v178, s[60:61]                 // 000000007D7C: D100003C 00F3653C
	s_lshl_b32 s60, s60, 1                                     // 000000007D84: 8E3C813C
	s_lshl_b32 s61, s61, 1                                     // 000000007D88: 8E3D813D
	s_and_b32 s60, 0xfffeffff, s60                             // 000000007D8C: 863C3CFF FFFEFFFF
	s_and_b32 s61, 0xfffeffff, s61                             // 000000007D94: 863D3DFF FFFEFFFF
	v_cndmask_b32_e64 v61, v61, v178, s[60:61]                 // 000000007D9C: D100003D 00F3653D
	s_lshl_b32 s60, s60, 1                                     // 000000007DA4: 8E3C813C
	s_lshl_b32 s61, s61, 1                                     // 000000007DA8: 8E3D813D
	s_and_b32 s60, 0xfffeffff, s60                             // 000000007DAC: 863C3CFF FFFEFFFF
	s_and_b32 s61, 0xfffeffff, s61                             // 000000007DB4: 863D3DFF FFFEFFFF
	v_cndmask_b32_e64 v62, v62, v178, s[60:61]                 // 000000007DBC: D100003E 00F3653E
	s_lshl_b32 s60, s60, 1                                     // 000000007DC4: 8E3C813C
	s_lshl_b32 s61, s61, 1                                     // 000000007DC8: 8E3D813D
	s_and_b32 s60, 0xfffeffff, s60                             // 000000007DCC: 863C3CFF FFFEFFFF
	s_and_b32 s61, 0xfffeffff, s61                             // 000000007DD4: 863D3DFF FFFEFFFF
	v_cndmask_b32_e64 v63, v63, v178, s[60:61]                 // 000000007DDC: D100003F 00F3653F
	s_branch label_0F91                                        // 000000007DE4: BF820005

0000000000007de8 <label_0F8C>:
	v_mov_b32_e32 v60, v178                                    // 000000007DE8: 7E7803B2
	v_mov_b32_e32 v61, v178                                    // 000000007DEC: 7E7A03B2
	v_mov_b32_e32 v62, v178                                    // 000000007DF0: 7E7C03B2
	v_mov_b32_e32 v63, v178                                    // 000000007DF4: 7E7E03B2
	s_branch label_0F91                                        // 000000007DF8: BF820000

0000000000007dfc <label_0F91>:
	s_addk_i32 s74, 0x1                                        // 000000007DFC: B74A0001
	s_add_u32 s62, 0, s46                                      // 000000007E00: 803E2E80
	s_cmp_lt_i32 s74, s62                                      // 000000007E04: BF043E4A
	s_cbranch_scc1 label_0FBD                                  // 000000007E08: BF850028
	s_cmp_eq_i32 s74, s62                                      // 000000007E0C: BF003E4A
	s_cbranch_scc1 label_0FA2                                  // 000000007E10: BF85000B
	s_add_u32 s62, 4, s46                                      // 000000007E14: 803E2E84
	s_cmp_lt_i32 s74, s62                                      // 000000007E18: BF043E4A
	s_cbranch_scc1 label_0FDD                                  // 000000007E1C: BF850043
	s_cmp_eq_i32 s74, s62                                      // 000000007E20: BF003E4A
	s_cbranch_scc1 label_0FC2                                  // 000000007E24: BF850026
	s_add_u32 s62, 8, s46                                      // 000000007E28: 803E2E88
	s_cmp_lt_i32 s74, s62                                      // 000000007E2C: BF043E4A
	s_cbranch_scc1 label_0FFD                                  // 000000007E30: BF85005E
	s_cmp_eq_i32 s74, s62                                      // 000000007E34: BF003E4A
	s_cbranch_scc1 label_0FE2                                  // 000000007E38: BF850041
	s_branch label_1002                                        // 000000007E3C: BF820060

0000000000007e40 <label_0FA2>:
	v_cndmask_b32_e64 v64, v64, v178, s[60:61]                 // 000000007E40: D1000040 00F36540
	s_lshl_b32 s60, s60, 1                                     // 000000007E48: 8E3C813C
	s_lshl_b32 s61, s61, 1                                     // 000000007E4C: 8E3D813D
	s_and_b32 s60, 0xfffeffff, s60                             // 000000007E50: 863C3CFF FFFEFFFF
	s_and_b32 s61, 0xfffeffff, s61                             // 000000007E58: 863D3DFF FFFEFFFF
	v_cndmask_b32_e64 v65, v65, v178, s[60:61]                 // 000000007E60: D1000041 00F36541
	s_lshl_b32 s60, s60, 1                                     // 000000007E68: 8E3C813C
	s_lshl_b32 s61, s61, 1                                     // 000000007E6C: 8E3D813D
	s_and_b32 s60, 0xfffeffff, s60                             // 000000007E70: 863C3CFF FFFEFFFF
	s_and_b32 s61, 0xfffeffff, s61                             // 000000007E78: 863D3DFF FFFEFFFF
	v_cndmask_b32_e64 v66, v66, v178, s[60:61]                 // 000000007E80: D1000042 00F36542
	s_lshl_b32 s60, s60, 1                                     // 000000007E88: 8E3C813C
	s_lshl_b32 s61, s61, 1                                     // 000000007E8C: 8E3D813D
	s_and_b32 s60, 0xfffeffff, s60                             // 000000007E90: 863C3CFF FFFEFFFF
	s_and_b32 s61, 0xfffeffff, s61                             // 000000007E98: 863D3DFF FFFEFFFF
	v_cndmask_b32_e64 v67, v67, v178, s[60:61]                 // 000000007EA0: D1000043 00F36543
	s_branch label_0FDD                                        // 000000007EA8: BF820020

0000000000007eac <label_0FBD>:
	v_mov_b32_e32 v64, v178                                    // 000000007EAC: 7E8003B2
	v_mov_b32_e32 v65, v178                                    // 000000007EB0: 7E8203B2
	v_mov_b32_e32 v66, v178                                    // 000000007EB4: 7E8403B2
	v_mov_b32_e32 v67, v178                                    // 000000007EB8: 7E8603B2
	s_branch label_0FDD                                        // 000000007EBC: BF82001B

0000000000007ec0 <label_0FC2>:
	v_cndmask_b32_e64 v68, v68, v178, s[60:61]                 // 000000007EC0: D1000044 00F36544
	s_lshl_b32 s60, s60, 1                                     // 000000007EC8: 8E3C813C
	s_lshl_b32 s61, s61, 1                                     // 000000007ECC: 8E3D813D
	s_and_b32 s60, 0xfffeffff, s60                             // 000000007ED0: 863C3CFF FFFEFFFF
	s_and_b32 s61, 0xfffeffff, s61                             // 000000007ED8: 863D3DFF FFFEFFFF
	v_cndmask_b32_e64 v69, v69, v178, s[60:61]                 // 000000007EE0: D1000045 00F36545
	s_lshl_b32 s60, s60, 1                                     // 000000007EE8: 8E3C813C
	s_lshl_b32 s61, s61, 1                                     // 000000007EEC: 8E3D813D
	s_and_b32 s60, 0xfffeffff, s60                             // 000000007EF0: 863C3CFF FFFEFFFF
	s_and_b32 s61, 0xfffeffff, s61                             // 000000007EF8: 863D3DFF FFFEFFFF
	v_cndmask_b32_e64 v70, v70, v178, s[60:61]                 // 000000007F00: D1000046 00F36546
	s_lshl_b32 s60, s60, 1                                     // 000000007F08: 8E3C813C
	s_lshl_b32 s61, s61, 1                                     // 000000007F0C: 8E3D813D
	s_and_b32 s60, 0xfffeffff, s60                             // 000000007F10: 863C3CFF FFFEFFFF
	s_and_b32 s61, 0xfffeffff, s61                             // 000000007F18: 863D3DFF FFFEFFFF
	v_cndmask_b32_e64 v71, v71, v178, s[60:61]                 // 000000007F20: D1000047 00F36547
	s_branch label_0FFD                                        // 000000007F28: BF820020

0000000000007f2c <label_0FDD>:
	v_mov_b32_e32 v68, v178                                    // 000000007F2C: 7E8803B2
	v_mov_b32_e32 v69, v178                                    // 000000007F30: 7E8A03B2
	v_mov_b32_e32 v70, v178                                    // 000000007F34: 7E8C03B2
	v_mov_b32_e32 v71, v178                                    // 000000007F38: 7E8E03B2
	s_branch label_0FFD                                        // 000000007F3C: BF82001B

0000000000007f40 <label_0FE2>:
	v_cndmask_b32_e64 v72, v72, v178, s[60:61]                 // 000000007F40: D1000048 00F36548
	s_lshl_b32 s60, s60, 1                                     // 000000007F48: 8E3C813C
	s_lshl_b32 s61, s61, 1                                     // 000000007F4C: 8E3D813D
	s_and_b32 s60, 0xfffeffff, s60                             // 000000007F50: 863C3CFF FFFEFFFF
	s_and_b32 s61, 0xfffeffff, s61                             // 000000007F58: 863D3DFF FFFEFFFF
	v_cndmask_b32_e64 v73, v73, v178, s[60:61]                 // 000000007F60: D1000049 00F36549
	s_lshl_b32 s60, s60, 1                                     // 000000007F68: 8E3C813C
	s_lshl_b32 s61, s61, 1                                     // 000000007F6C: 8E3D813D
	s_and_b32 s60, 0xfffeffff, s60                             // 000000007F70: 863C3CFF FFFEFFFF
	s_and_b32 s61, 0xfffeffff, s61                             // 000000007F78: 863D3DFF FFFEFFFF
	v_cndmask_b32_e64 v74, v74, v178, s[60:61]                 // 000000007F80: D100004A 00F3654A
	s_lshl_b32 s60, s60, 1                                     // 000000007F88: 8E3C813C
	s_lshl_b32 s61, s61, 1                                     // 000000007F8C: 8E3D813D
	s_and_b32 s60, 0xfffeffff, s60                             // 000000007F90: 863C3CFF FFFEFFFF
	s_and_b32 s61, 0xfffeffff, s61                             // 000000007F98: 863D3DFF FFFEFFFF
	v_cndmask_b32_e64 v75, v75, v178, s[60:61]                 // 000000007FA0: D100004B 00F3654B
	s_branch label_1002                                        // 000000007FA8: BF820005

0000000000007fac <label_0FFD>:
	v_mov_b32_e32 v72, v178                                    // 000000007FAC: 7E9003B2
	v_mov_b32_e32 v73, v178                                    // 000000007FB0: 7E9203B2
	v_mov_b32_e32 v74, v178                                    // 000000007FB4: 7E9403B2
	v_mov_b32_e32 v75, v178                                    // 000000007FB8: 7E9603B2
	s_branch label_1002                                        // 000000007FBC: BF820000

0000000000007fc0 <label_1002>:
	s_cmp_lt_i32 s101, 0xc0                                    // 000000007FC0: BF04FF65 000000C0
	s_cbranch_scc0 label_107B                                  // 000000007FC8: BF84006D
	s_cmp_le_i32 s101, 64                                      // 000000007FCC: BF05C065
	s_cbranch_scc1 label_100E                                  // 000000007FD0: BF850007
	s_cmp_le_i32 s101, 0x80                                    // 000000007FD4: BF05FF65 00000080
	s_cbranch_scc1 label_1032                                  // 000000007FDC: BF85001F
	s_cmp_lt_i32 s101, 0xc0                                    // 000000007FE0: BF04FF65 000000C0
	s_cbranch_scc1 label_1056                                  // 000000007FE8: BF850040
	s_branch label_107B                                        // 000000007FEC: BF820064

0000000000007ff0 <label_100E>:
	s_mov_b32 s60, 0                                           // 000000007FF0: BEBC0080
	v_and_b32_e32 v32, 15, v0                                  // 000000007FF4: 2640008F
	v_add_u32_e64 v32, v32, s60                                // 000000007FF8: D1340020 00007920
	v_mul_i32_i24_e64 v33, s46, 16                             // 000000008000: D1060021 0001202E
	v_add_u32_e32 v32, v32, v33                                // 000000008008: 68404320
	v_cmp_lt_u32_e64 s[60:61], v32, s101                       // 00000000800C: D0C9003C 0000CB20
	s_nop 1                                                    // 000000008014: BF800001
	v_cndmask_b32_e64 v52, v178, v52, s[60:61]                 // 000000008018: D1000034 00F269B2
	v_cndmask_b32_e64 v64, v178, v64, s[60:61]                 // 000000008020: D1000040 00F281B2
	v_cndmask_b32_e64 v53, v178, v53, s[60:61]                 // 000000008028: D1000035 00F26BB2
	v_cndmask_b32_e64 v65, v178, v65, s[60:61]                 // 000000008030: D1000041 00F283B2
	v_cndmask_b32_e64 v54, v178, v54, s[60:61]                 // 000000008038: D1000036 00F26DB2
	v_cndmask_b32_e64 v66, v178, v66, s[60:61]                 // 000000008040: D1000042 00F285B2
	v_cndmask_b32_e64 v55, v178, v55, s[60:61]                 // 000000008048: D1000037 00F26FB2
	v_cndmask_b32_e64 v67, v178, v67, s[60:61]                 // 000000008050: D1000043 00F287B2
	s_branch label_104D                                        // 000000008058: BF82001B

000000000000805c <label_1032>:
	s_mov_b32 s60, 64                                          // 00000000805C: BEBC00C0
	v_and_b32_e32 v32, 15, v0                                  // 000000008060: 2640008F
	v_add_u32_e64 v32, v32, s60                                // 000000008064: D1340020 00007920
	v_mul_i32_i24_e64 v33, s46, 16                             // 00000000806C: D1060021 0001202E
	v_add_u32_e32 v32, v32, v33                                // 000000008074: 68404320
	v_cmp_lt_u32_e64 s[60:61], v32, s101                       // 000000008078: D0C9003C 0000CB20
	s_nop 1                                                    // 000000008080: BF800001
	v_cndmask_b32_e64 v56, v178, v56, s[60:61]                 // 000000008084: D1000038 00F271B2
	v_cndmask_b32_e64 v68, v178, v68, s[60:61]                 // 00000000808C: D1000044 00F289B2
	v_cndmask_b32_e64 v57, v178, v57, s[60:61]                 // 000000008094: D1000039 00F273B2
	v_cndmask_b32_e64 v69, v178, v69, s[60:61]                 // 00000000809C: D1000045 00F28BB2
	v_cndmask_b32_e64 v58, v178, v58, s[60:61]                 // 0000000080A4: D100003A 00F275B2
	v_cndmask_b32_e64 v70, v178, v70, s[60:61]                 // 0000000080AC: D1000046 00F28DB2
	v_cndmask_b32_e64 v59, v178, v59, s[60:61]                 // 0000000080B4: D100003B 00F277B2
	v_cndmask_b32_e64 v71, v178, v71, s[60:61]                 // 0000000080BC: D1000047 00F28FB2
	s_branch label_1072                                        // 0000000080C4: BF820025

00000000000080c8 <label_104D>:
	v_mov_b32_e32 v56, v178                                    // 0000000080C8: 7E7003B2
	v_mov_b32_e32 v68, v178                                    // 0000000080CC: 7E8803B2
	v_mov_b32_e32 v57, v178                                    // 0000000080D0: 7E7203B2
	v_mov_b32_e32 v69, v178                                    // 0000000080D4: 7E8A03B2
	v_mov_b32_e32 v58, v178                                    // 0000000080D8: 7E7403B2
	v_mov_b32_e32 v70, v178                                    // 0000000080DC: 7E8C03B2
	v_mov_b32_e32 v59, v178                                    // 0000000080E0: 7E7603B2
	v_mov_b32_e32 v71, v178                                    // 0000000080E4: 7E8E03B2
	s_branch label_1072                                        // 0000000080E8: BF82001C

00000000000080ec <label_1056>:
	s_mov_b32 s60, 0x80                                        // 0000000080EC: BEBC00FF 00000080
	v_and_b32_e32 v32, 15, v0                                  // 0000000080F4: 2640008F
	v_add_u32_e64 v32, v32, s60                                // 0000000080F8: D1340020 00007920
	v_mul_i32_i24_e64 v33, s46, 16                             // 000000008100: D1060021 0001202E
	v_add_u32_e32 v32, v32, v33                                // 000000008108: 68404320
	v_cmp_lt_u32_e64 s[60:61], v32, s101                       // 00000000810C: D0C9003C 0000CB20
	s_nop 1                                                    // 000000008114: BF800001
	v_cndmask_b32_e64 v60, v178, v60, s[60:61]                 // 000000008118: D100003C 00F279B2
	v_cndmask_b32_e64 v72, v178, v72, s[60:61]                 // 000000008120: D1000048 00F291B2
	v_cndmask_b32_e64 v61, v178, v61, s[60:61]                 // 000000008128: D100003D 00F27BB2
	v_cndmask_b32_e64 v73, v178, v73, s[60:61]                 // 000000008130: D1000049 00F293B2
	v_cndmask_b32_e64 v62, v178, v62, s[60:61]                 // 000000008138: D100003E 00F27DB2
	v_cndmask_b32_e64 v74, v178, v74, s[60:61]                 // 000000008140: D100004A 00F295B2
	v_cndmask_b32_e64 v63, v178, v63, s[60:61]                 // 000000008148: D100003F 00F27FB2
	v_cndmask_b32_e64 v75, v178, v75, s[60:61]                 // 000000008150: D100004B 00F297B2
	s_branch label_107B                                        // 000000008158: BF820009

000000000000815c <label_1072>:
	v_mov_b32_e32 v60, v178                                    // 00000000815C: 7E7803B2
	v_mov_b32_e32 v72, v178                                    // 000000008160: 7E9003B2
	v_mov_b32_e32 v61, v178                                    // 000000008164: 7E7A03B2
	v_mov_b32_e32 v73, v178                                    // 000000008168: 7E9203B2
	v_mov_b32_e32 v62, v178                                    // 00000000816C: 7E7C03B2
	v_mov_b32_e32 v74, v178                                    // 000000008170: 7E9403B2
	v_mov_b32_e32 v63, v178                                    // 000000008174: 7E7E03B2
	v_mov_b32_e32 v75, v178                                    // 000000008178: 7E9603B2
	s_branch label_107B                                        // 00000000817C: BF820000

0000000000008180 <label_107B>:
	s_addk_i32 s74, 0x1                                        // 000000008180: B74A0001
	s_waitcnt lgkmcnt(8)                                       // 000000008184: BF8CC87F
	s_barrier                                                  // 000000008188: BF8A0000
	v_mfma_f32_16x16x16_bf16 v[76:79], v[108:109], a[72:73], 0 // 00000000818C: D3E1004C 1202916C
	v_fma_f32 v52, v52, s57, -v140                             // 000000008194: D1CB0034 86307334
	v_fma_f32 v53, v53, s57, -v141                             // 00000000819C: D1CB0035 86347335
	v_fma_f32 v54, v54, s57, -v142                             // 0000000081A4: D1CB0036 86387336
	v_fma_f32 v55, v55, s57, -v143                             // 0000000081AC: D1CB0037 863C7337
	v_fma_f32 v56, v56, s57, -v140                             // 0000000081B4: D1CB0038 86307338
	v_fma_f32 v57, v57, s57, -v141                             // 0000000081BC: D1CB0039 86347339
	v_mfma_f32_16x16x16_bf16 v[76:79], v[110:111], a[74:75], v[76:79]// 0000000081C4: D3E1004C 1532956E
	ds_read_b128 a[96:99], v14 offset:4352                     // 0000000081CC: DBFE1100 6000000E
	ds_read_b128 a[100:103], v14 offset:4864                   // 0000000081D4: DBFE1300 6400000E
	v_mfma_f32_16x16x16_bf16 v[76:79], v[112:113], a[76:77], v[76:79]// 0000000081DC: D3E1004C 15329970
	v_fma_f32 v58, v58, s57, -v142                             // 0000000081E4: D1CB003A 8638733A
	v_fma_f32 v59, v59, s57, -v143                             // 0000000081EC: D1CB003B 863C733B
	v_fma_f32 v60, v60, s57, -v140                             // 0000000081F4: D1CB003C 8630733C
	v_fma_f32 v61, v61, s57, -v141                             // 0000000081FC: D1CB003D 8634733D
	v_fma_f32 v62, v62, s57, -v142                             // 000000008204: D1CB003E 8638733E
	v_fma_f32 v63, v63, s57, -v143                             // 00000000820C: D1CB003F 863C733F
	v_mfma_f32_16x16x16_bf16 v[76:79], v[114:115], a[78:79], v[76:79]// 000000008214: D3E1004C 15329D72
	v_fma_f32 v64, v64, s57, -v144                             // 00000000821C: D1CB0040 86407340
	v_fma_f32 v65, v65, s57, -v145                             // 000000008224: D1CB0041 86447341
	v_fma_f32 v66, v66, s57, -v146                             // 00000000822C: D1CB0042 86487342
	v_fma_f32 v67, v67, s57, -v147                             // 000000008234: D1CB0043 864C7343
	v_fma_f32 v68, v68, s57, -v144                             // 00000000823C: D1CB0044 86407344
	v_fma_f32 v69, v69, s57, -v145                             // 000000008244: D1CB0045 86447345
	v_mfma_f32_16x16x16_bf16 v[80:83], v[108:109], a[80:81], 0 // 00000000824C: D3E10050 1202A16C
	v_fma_f32 v70, v70, s57, -v146                             // 000000008254: D1CB0046 86487346
	v_fma_f32 v71, v71, s57, -v147                             // 00000000825C: D1CB0047 864C7347
	v_fma_f32 v72, v72, s57, -v144                             // 000000008264: D1CB0048 86407348
	v_fma_f32 v73, v73, s57, -v145                             // 00000000826C: D1CB0049 86447349
	v_fma_f32 v74, v74, s57, -v146                             // 000000008274: D1CB004A 8648734A
	v_fma_f32 v75, v75, s57, -v147                             // 00000000827C: D1CB004B 864C734B
	v_mfma_f32_16x16x16_bf16 v[80:83], v[110:111], a[82:83], v[80:83]// 000000008284: D3E10050 1542A56E
	ds_read_b128 a[104:107], v14 offset:6528                   // 00000000828C: DBFE1980 6800000E
	ds_read_b128 a[108:111], v14 offset:7040                   // 000000008294: DBFE1B80 6C00000E
	v_mfma_f32_16x16x16_bf16 v[80:83], v[112:113], a[84:85], v[80:83]// 00000000829C: D3E10050 1542A970
	v_exp_f32_e32 v52, v52                                     // 0000000082A4: 7E684134
	v_exp_f32_e32 v53, v53                                     // 0000000082A8: 7E6A4135
	v_mfma_f32_16x16x16_bf16 v[80:83], v[114:115], a[86:87], v[80:83]// 0000000082AC: D3E10050 1542AD72
	v_exp_f32_e32 v54, v54                                     // 0000000082B4: 7E6C4136
	v_exp_f32_e32 v55, v55                                     // 0000000082B8: 7E6E4137
	v_mfma_f32_16x16x16_bf16 v[84:87], v[108:109], a[88:89], 0 // 0000000082BC: D3E10054 1202B16C
	v_exp_f32_e32 v56, v56                                     // 0000000082C4: 7E704138
	v_exp_f32_e32 v57, v57                                     // 0000000082C8: 7E724139
	v_mfma_f32_16x16x16_bf16 v[84:87], v[110:111], a[90:91], v[84:87]// 0000000082CC: D3E10054 1552B56E
	ds_read_b64 v[156:157], v21 offset:31232                   // 0000000082D4: D8EC7A00 9C000015
	ds_read_b64 v[158:159], v21 offset:33280                   // 0000000082DC: D8EC8200 9E000015
	v_mfma_f32_16x16x16_bf16 v[84:87], v[112:113], a[92:93], v[84:87]// 0000000082E4: D3E10054 1552B970
	v_exp_f32_e32 v58, v58                                     // 0000000082EC: 7E74413A
	v_exp_f32_e32 v59, v59                                     // 0000000082F0: 7E76413B
	v_mfma_f32_16x16x16_bf16 v[84:87], v[114:115], a[94:95], v[84:87]// 0000000082F4: D3E10054 1552BD72
	ds_read_b64 v[160:161], v21 offset:35328                   // 0000000082FC: D8EC8A00 A0000015
	ds_read_b64 v[162:163], v21 offset:37376                   // 000000008304: D8EC9200 A2000015
	v_mfma_f32_16x16x16_bf16 v[88:91], v[116:117], a[72:73], 0 // 00000000830C: D3E10058 12029174
	v_exp_f32_e32 v60, v60                                     // 000000008314: 7E78413C
	v_exp_f32_e32 v61, v61                                     // 000000008318: 7E7A413D
	v_mfma_f32_16x16x16_bf16 v[88:91], v[118:119], a[74:75], v[88:91]// 00000000831C: D3E10058 15629576
	v_exp_f32_e32 v62, v62                                     // 000000008324: 7E7C413E
	v_exp_f32_e32 v63, v63                                     // 000000008328: 7E7E413F
	v_mfma_f32_16x16x16_bf16 v[88:91], v[120:121], a[76:77], v[88:91]// 00000000832C: D3E10058 15629978
	v_exp_f32_e32 v64, v64                                     // 000000008334: 7E804140
	v_exp_f32_e32 v65, v65                                     // 000000008338: 7E824141
	v_mfma_f32_16x16x16_bf16 v[88:91], v[122:123], a[78:79], v[88:91]// 00000000833C: D3E10058 15629D7A
	v_exp_f32_e32 v66, v66                                     // 000000008344: 7E844142
	v_exp_f32_e32 v67, v67                                     // 000000008348: 7E864143
	v_mfma_f32_16x16x16_bf16 v[92:95], v[116:117], a[80:81], 0 // 00000000834C: D3E1005C 1202A174
	v_exp_f32_e32 v68, v68                                     // 000000008354: 7E884144
	v_exp_f32_e32 v69, v69                                     // 000000008358: 7E8A4145
	v_mfma_f32_16x16x16_bf16 v[92:95], v[118:119], a[82:83], v[92:95]// 00000000835C: D3E1005C 1572A576
	v_exp_f32_e32 v70, v70                                     // 000000008364: 7E8C4146
	v_exp_f32_e32 v71, v71                                     // 000000008368: 7E8E4147
	v_mfma_f32_16x16x16_bf16 v[92:95], v[120:121], a[84:85], v[92:95]// 00000000836C: D3E1005C 1572A978
	v_exp_f32_e32 v72, v72                                     // 000000008374: 7E904148
	v_exp_f32_e32 v73, v73                                     // 000000008378: 7E924149
	v_mfma_f32_16x16x16_bf16 v[92:95], v[122:123], a[86:87], v[92:95]// 00000000837C: D3E1005C 1572AD7A
	v_exp_f32_e32 v74, v74                                     // 000000008384: 7E94414A
	v_exp_f32_e32 v75, v75                                     // 000000008388: 7E96414B
	v_mfma_f32_16x16x16_bf16 v[96:99], v[116:117], a[88:89], 0 // 00000000838C: D3E10060 1202B174
	v_perm_b32 v164, v53, v52, s64                             // 000000008394: D1ED00A4 01026935
	v_perm_b32 v165, v55, v54, s64                             // 00000000839C: D1ED00A5 01026D37
	v_perm_b32 v166, v57, v56, s64                             // 0000000083A4: D1ED00A6 01027139
	v_perm_b32 v167, v59, v58, s64                             // 0000000083AC: D1ED00A7 0102753B
	v_perm_b32 v168, v61, v60, s64                             // 0000000083B4: D1ED00A8 0102793D
	v_perm_b32 v169, v63, v62, s64                             // 0000000083BC: D1ED00A9 01027D3F
	v_mfma_f32_16x16x16_bf16 v[96:99], v[118:119], a[90:91], v[96:99]// 0000000083C4: D3E10060 1582B576
	v_perm_b32 v170, v65, v64, s64                             // 0000000083CC: D1ED00AA 01028141
	v_perm_b32 v171, v67, v66, s64                             // 0000000083D4: D1ED00AB 01028543
	v_perm_b32 v172, v69, v68, s64                             // 0000000083DC: D1ED00AC 01028945
	v_perm_b32 v173, v71, v70, s64                             // 0000000083E4: D1ED00AD 01028D47
	v_perm_b32 v174, v73, v72, s64                             // 0000000083EC: D1ED00AE 01029149
	v_perm_b32 v175, v75, v74, s64                             // 0000000083F4: D1ED00AF 0102954B
	v_mfma_f32_16x16x16_bf16 v[96:99], v[120:121], a[92:93], v[96:99]// 0000000083FC: D3E10060 1582B978
	v_add_u32_e32 v6, s66, v6                                  // 000000008404: 680C0C42
	v_add_u32_e32 v7, s66, v7                                  // 000000008408: 680E0E42
	v_add_u32_e32 v8, s66, v8                                  // 00000000840C: 68101042
	v_add_u32_e32 v9, s66, v9                                  // 000000008410: 68121242
	v_mfma_f32_16x16x16_bf16 v[96:99], v[122:123], a[94:95], v[96:99]// 000000008414: D3E10060 1582BD7A
	s_waitcnt lgkmcnt(0)                                       // 00000000841C: BF8CC07F
	s_barrier                                                  // 000000008420: BF8A0000
	v_mfma_f32_16x16x16_bf16 v[180:183], v[124:125], v[164:165], v[180:183]// 000000008424: D3E100B4 06D3497C
	v_subrev_f32_dpp v76, v176, v76 quad_perm:[0,0,0,0] row_mask:0xf bank_mask:0xf// 00000000842C: 069898FA FF0000B0
	v_subrev_f32_dpp v77, v176, v77 quad_perm:[1,1,1,1] row_mask:0xf bank_mask:0xf// 000000008434: 069A9AFA FF0055B0
	v_subrev_f32_dpp v78, v176, v78 quad_perm:[2,2,2,2] row_mask:0xf bank_mask:0xf// 00000000843C: 069C9CFA FF00AAB0
	v_subrev_f32_dpp v79, v176, v79 quad_perm:[3,3,3,3] row_mask:0xf bank_mask:0xf// 000000008444: 069E9EFA FF00FFB0
	v_subrev_f32_dpp v80, v176, v80 quad_perm:[0,0,0,0] row_mask:0xf bank_mask:0xf// 00000000844C: 06A0A0FA FF0000B0
	v_subrev_f32_dpp v81, v176, v81 quad_perm:[1,1,1,1] row_mask:0xf bank_mask:0xf// 000000008454: 06A2A2FA FF0055B0
	v_mfma_f32_16x16x16_bf16 v[184:187], v[126:127], v[164:165], v[184:187]// 00000000845C: D3E100B8 06E3497E
	v_subrev_f32_dpp v82, v176, v82 quad_perm:[2,2,2,2] row_mask:0xf bank_mask:0xf// 000000008464: 06A4A4FA FF00AAB0
	v_subrev_f32_dpp v83, v176, v83 quad_perm:[3,3,3,3] row_mask:0xf bank_mask:0xf// 00000000846C: 06A6A6FA FF00FFB0
	v_subrev_f32_dpp v84, v176, v84 quad_perm:[0,0,0,0] row_mask:0xf bank_mask:0xf// 000000008474: 06A8A8FA FF0000B0
	v_subrev_f32_dpp v85, v176, v85 quad_perm:[1,1,1,1] row_mask:0xf bank_mask:0xf// 00000000847C: 06AAAAFA FF0055B0
	v_subrev_f32_dpp v86, v176, v86 quad_perm:[2,2,2,2] row_mask:0xf bank_mask:0xf// 000000008484: 06ACACFA FF00AAB0
	v_subrev_f32_dpp v87, v176, v87 quad_perm:[3,3,3,3] row_mask:0xf bank_mask:0xf// 00000000848C: 06AEAEFA FF00FFB0
	v_mfma_f32_16x16x16_bf16 v[188:191], v[128:129], v[164:165], v[188:191]// 000000008494: D3E100BC 06F34980
	v_mul_f32_e32 v76, v52, v76                                // 00000000849C: 0A989934
	v_mul_f32_e32 v77, v53, v77                                // 0000000084A0: 0A9A9B35
	v_mul_f32_e32 v78, v54, v78                                // 0000000084A4: 0A9C9D36
	v_mul_f32_e32 v79, v55, v79                                // 0000000084A8: 0A9E9F37
	v_mul_f32_e32 v80, v56, v80                                // 0000000084AC: 0AA0A138
	v_mul_f32_e32 v81, v57, v81                                // 0000000084B0: 0AA2A339
	v_mfma_f32_16x16x16_bf16 v[192:195], v[130:131], v[164:165], v[192:195]// 0000000084B4: D3E100C0 07034982
	v_mul_f32_e32 v82, v58, v82                                // 0000000084BC: 0AA4A53A
	v_mul_f32_e32 v83, v59, v83                                // 0000000084C0: 0AA6A73B
	v_mul_f32_e32 v84, v60, v84                                // 0000000084C4: 0AA8A93C
	v_mul_f32_e32 v85, v61, v85                                // 0000000084C8: 0AAAAB3D
	v_mul_f32_e32 v86, v62, v86                                // 0000000084CC: 0AACAD3E
	v_mul_f32_e32 v87, v63, v87                                // 0000000084D0: 0AAEAF3F
	v_mfma_f32_16x16x16_bf16 v[196:199], v[124:125], v[166:167], v[196:199]// 0000000084D4: D3E100C4 07134D7C
	v_perm_b32 v76, v77, v76, s64                              // 0000000084DC: D1ED004C 0102994D
	v_perm_b32 v77, v79, v78, s64                              // 0000000084E4: D1ED004D 01029D4F
	v_perm_b32 v78, v81, v80, s64                              // 0000000084EC: D1ED004E 0102A151
	v_perm_b32 v79, v83, v82, s64                              // 0000000084F4: D1ED004F 0102A553
	v_perm_b32 v80, v85, v84, s64                              // 0000000084FC: D1ED0050 0102A955
	v_perm_b32 v81, v87, v86, s64                              // 000000008504: D1ED0051 0102AD57
	v_mfma_f32_16x16x16_bf16 v[200:203], v[126:127], v[166:167], v[200:203]// 00000000850C: D3E100C8 07234D7E
	v_mov_b32_dpp v18, v76 quad_perm:[1,0,3,2] row_mask:0xf bank_mask:0xf// 000000008514: 7E2402FA FF00B14C
	v_perm_b32 v52, v18, v76, v17                              // 00000000851C: D1ED0034 04469912
	v_mov_b32_dpp v18, v77 quad_perm:[1,0,3,2] row_mask:0xf bank_mask:0xf// 000000008524: 7E2402FA FF00B14D
	v_perm_b32 v53, v18, v77, v17                              // 00000000852C: D1ED0035 04469B12
	v_mov_b32_dpp v18, v78 quad_perm:[1,0,3,2] row_mask:0xf bank_mask:0xf// 000000008534: 7E2402FA FF00B14E
	v_perm_b32 v54, v18, v78, v17                              // 00000000853C: D1ED0036 04469D12
	v_mfma_f32_16x16x16_bf16 v[204:207], v[128:129], v[166:167], v[204:207]// 000000008544: D3E100CC 07334D80
	ds_write_b32 v20, v52 offset:17408                         // 00000000854C: D81A4400 00003414
	ds_write_b32 v20, v53 offset:17952                         // 000000008554: D81A4620 00003514
	v_mfma_f32_16x16x16_bf16 v[208:211], v[130:131], v[166:167], v[208:211]// 00000000855C: D3E100D0 07434D82
	v_mov_b32_dpp v18, v79 quad_perm:[1,0,3,2] row_mask:0xf bank_mask:0xf// 000000008564: 7E2402FA FF00B14F
	v_perm_b32 v55, v18, v79, v17                              // 00000000856C: D1ED0037 04469F12
	v_mov_b32_dpp v18, v80 quad_perm:[1,0,3,2] row_mask:0xf bank_mask:0xf// 000000008574: 7E2402FA FF00B150
	v_perm_b32 v56, v18, v80, v17                              // 00000000857C: D1ED0038 0446A112
	v_mov_b32_dpp v18, v81 quad_perm:[1,0,3,2] row_mask:0xf bank_mask:0xf// 000000008584: 7E2402FA FF00B151
	v_perm_b32 v57, v18, v81, v17                              // 00000000858C: D1ED0039 0446A312
	v_mfma_f32_16x16x16_bf16 v[212:215], v[124:125], v[168:169], v[212:215]// 000000008594: D3E100D4 0753517C
	ds_write_b32 v20, v54 offset:19712                         // 00000000859C: D81A4D00 00003614
	ds_write_b32 v20, v55 offset:20256                         // 0000000085A4: D81A4F20 00003714
	v_mfma_f32_16x16x16_bf16 v[216:219], v[126:127], v[168:169], v[216:219]// 0000000085AC: D3E100D8 0763517E
	v_subrev_f32_dpp v88, v177, v88 quad_perm:[0,0,0,0] row_mask:0xf bank_mask:0xf// 0000000085B4: 06B0B0FA FF0000B1
	v_subrev_f32_dpp v89, v177, v89 quad_perm:[1,1,1,1] row_mask:0xf bank_mask:0xf// 0000000085BC: 06B2B2FA FF0055B1
	v_subrev_f32_dpp v90, v177, v90 quad_perm:[2,2,2,2] row_mask:0xf bank_mask:0xf// 0000000085C4: 06B4B4FA FF00AAB1
	v_subrev_f32_dpp v91, v177, v91 quad_perm:[3,3,3,3] row_mask:0xf bank_mask:0xf// 0000000085CC: 06B6B6FA FF00FFB1
	v_subrev_f32_dpp v92, v177, v92 quad_perm:[0,0,0,0] row_mask:0xf bank_mask:0xf// 0000000085D4: 06B8B8FA FF0000B1
	v_subrev_f32_dpp v93, v177, v93 quad_perm:[1,1,1,1] row_mask:0xf bank_mask:0xf// 0000000085DC: 06BABAFA FF0055B1
	v_mfma_f32_16x16x16_bf16 v[220:223], v[128:129], v[168:169], v[220:223]// 0000000085E4: D3E100DC 07735180
	ds_write_b32 v20, v56 offset:22016                         // 0000000085EC: D81A5600 00003814
	ds_write_b32 v20, v57 offset:22560                         // 0000000085F4: D81A5820 00003914
	v_mfma_f32_16x16x16_bf16 v[224:227], v[130:131], v[168:169], v[224:227]// 0000000085FC: D3E100E0 07835182
	v_subrev_f32_dpp v94, v177, v94 quad_perm:[2,2,2,2] row_mask:0xf bank_mask:0xf// 000000008604: 06BCBCFA FF00AAB1
	v_subrev_f32_dpp v95, v177, v95 quad_perm:[3,3,3,3] row_mask:0xf bank_mask:0xf// 00000000860C: 06BEBEFA FF00FFB1
	v_subrev_f32_dpp v96, v177, v96 quad_perm:[0,0,0,0] row_mask:0xf bank_mask:0xf// 000000008614: 06C0C0FA FF0000B1
	v_subrev_f32_dpp v97, v177, v97 quad_perm:[1,1,1,1] row_mask:0xf bank_mask:0xf// 00000000861C: 06C2C2FA FF0055B1
	v_subrev_f32_dpp v98, v177, v98 quad_perm:[2,2,2,2] row_mask:0xf bank_mask:0xf// 000000008624: 06C4C4FA FF00AAB1
	v_subrev_f32_dpp v99, v177, v99 quad_perm:[3,3,3,3] row_mask:0xf bank_mask:0xf// 00000000862C: 06C6C6FA FF00FFB1
	v_mfma_f32_16x16x16_bf16 v[180:183], v[132:133], v[170:171], v[180:183]// 000000008634: D3E100B4 06D35584
	v_mul_f32_e32 v88, v64, v88                                // 00000000863C: 0AB0B140
	v_mul_f32_e32 v89, v65, v89                                // 000000008640: 0AB2B341
	v_mul_f32_e32 v90, v66, v90                                // 000000008644: 0AB4B542
	v_mul_f32_e32 v91, v67, v91                                // 000000008648: 0AB6B743
	v_mul_f32_e32 v92, v68, v92                                // 00000000864C: 0AB8B944
	v_mul_f32_e32 v93, v69, v93                                // 000000008650: 0ABABB45
	v_mfma_f32_16x16x16_bf16 v[184:187], v[134:135], v[170:171], v[184:187]// 000000008654: D3E100B8 06E35586
	v_mul_f32_e32 v94, v70, v94                                // 00000000865C: 0ABCBD46
	v_mul_f32_e32 v95, v71, v95                                // 000000008660: 0ABEBF47
	v_mul_f32_e32 v96, v72, v96                                // 000000008664: 0AC0C148
	v_mul_f32_e32 v97, v73, v97                                // 000000008668: 0AC2C349
	v_mul_f32_e32 v98, v74, v98                                // 00000000866C: 0AC4C54A
	v_mul_f32_e32 v99, v75, v99                                // 000000008670: 0AC6C74B
	v_mfma_f32_16x16x16_bf16 v[188:191], v[136:137], v[170:171], v[188:191]// 000000008674: D3E100BC 06F35588
	v_perm_b32 v82, v89, v88, s64                              // 00000000867C: D1ED0052 0102B159
	v_perm_b32 v83, v91, v90, s64                              // 000000008684: D1ED0053 0102B55B
	v_perm_b32 v84, v93, v92, s64                              // 00000000868C: D1ED0054 0102B95D
	v_perm_b32 v85, v95, v94, s64                              // 000000008694: D1ED0055 0102BD5F
	v_perm_b32 v86, v97, v96, s64                              // 00000000869C: D1ED0056 0102C161
	v_perm_b32 v87, v99, v98, s64                              // 0000000086A4: D1ED0057 0102C563
	v_mfma_f32_16x16x16_bf16 v[192:195], v[138:139], v[170:171], v[192:195]// 0000000086AC: D3E100C0 0703558A
	v_mov_b32_dpp v18, v82 quad_perm:[1,0,3,2] row_mask:0xf bank_mask:0xf// 0000000086B4: 7E2402FA FF00B152
	v_perm_b32 v58, v18, v82, v17                              // 0000000086BC: D1ED003A 0446A512
	v_mov_b32_dpp v18, v83 quad_perm:[1,0,3,2] row_mask:0xf bank_mask:0xf// 0000000086C4: 7E2402FA FF00B153
	v_perm_b32 v59, v18, v83, v17                              // 0000000086CC: D1ED003B 0446A712
	v_mov_b32_dpp v18, v84 quad_perm:[1,0,3,2] row_mask:0xf bank_mask:0xf// 0000000086D4: 7E2402FA FF00B154
	v_perm_b32 v60, v18, v84, v17                              // 0000000086DC: D1ED003C 0446A912
	v_mfma_f32_16x16x16_bf16 v[196:199], v[132:133], v[172:173], v[196:199]// 0000000086E4: D3E100C4 07135984
	ds_write_b32 v20, v58 offset:24320                         // 0000000086EC: D81A5F00 00003A14
	ds_write_b32 v20, v59 offset:24864                         // 0000000086F4: D81A6120 00003B14
	v_mfma_f32_16x16x16_bf16 v[200:203], v[134:135], v[172:173], v[200:203]// 0000000086FC: D3E100C8 07235986
	v_mov_b32_dpp v18, v85 quad_perm:[1,0,3,2] row_mask:0xf bank_mask:0xf// 000000008704: 7E2402FA FF00B155
	v_perm_b32 v61, v18, v85, v17                              // 00000000870C: D1ED003D 0446AB12
	v_mov_b32_dpp v18, v86 quad_perm:[1,0,3,2] row_mask:0xf bank_mask:0xf// 000000008714: 7E2402FA FF00B156
	v_perm_b32 v62, v18, v86, v17                              // 00000000871C: D1ED003E 0446AD12
	v_mov_b32_dpp v18, v87 quad_perm:[1,0,3,2] row_mask:0xf bank_mask:0xf// 000000008724: 7E2402FA FF00B157
	v_perm_b32 v63, v18, v87, v17                              // 00000000872C: D1ED003F 0446AF12
	v_mfma_f32_16x16x16_bf16 v[204:207], v[136:137], v[172:173], v[204:207]// 000000008734: D3E100CC 07335988
	ds_write_b32 v20, v60 offset:26624                         // 00000000873C: D81A6800 00003C14
	ds_write_b32 v20, v61 offset:27168                         // 000000008744: D81A6A20 00003D14
	ds_write_b32 v20, v62 offset:28928                         // 00000000874C: D81A7100 00003E14
	ds_write_b32 v20, v63 offset:29472                         // 000000008754: D81A7320 00003F14
	v_mfma_f32_16x16x16_bf16 v[208:211], v[138:139], v[172:173], v[208:211]// 00000000875C: D3E100D0 0743598A
	v_mfma_f32_16x16x16_bf16 v[212:215], v[132:133], v[174:175], v[212:215]// 000000008764: D3E100D4 07535D84
	ds_write_b32 v15, v100 offset:4352                         // 00000000876C: D81A1100 0000640F
	ds_write_b32 v15, v101 offset:5408                         // 000000008774: D81A1520 0000650F
	v_mfma_f32_16x16x16_bf16 v[216:219], v[134:135], v[174:175], v[216:219]// 00000000877C: D3E100D8 07635D86
	v_mfma_f32_16x16x16_bf16 v[220:223], v[136:137], v[174:175], v[220:223]// 000000008784: D3E100DC 07735D88
	ds_write_b32 v15, v102 offset:6528                         // 00000000878C: D81A1980 0000660F
	ds_write_b32 v15, v103 offset:7584                         // 000000008794: D81A1DA0 0000670F
	v_mfma_f32_16x16x16_bf16 v[224:227], v[138:139], v[174:175], v[224:227]// 00000000879C: D3E100E0 07835D8A
	s_nop 0                                                    // 0000000087A4: BF800000
	s_nop 0                                                    // 0000000087A8: BF800000
	s_nop 0                                                    // 0000000087AC: BF800000
	s_barrier                                                  // 0000000087B0: BF8A0000
	v_mfma_f32_16x16x16_bf16 a[112:115], a[96:97], v[76:77], a[112:115]// 0000000087B4: D3E18070 0DC29960
	ds_read_b32 v140, v23 offset:39936                         // 0000000087BC: D86C9C00 8C000017
	ds_read_b32 v144, v23 offset:40000                         // 0000000087C4: D86C9C40 90000017
	ds_read_b32 v176, v23 offset:40192                         // 0000000087CC: D86C9D00 B0000017
	ds_read_b32 v177, v23 offset:40256                         // 0000000087D4: D86C9D40 B1000017
	v_mfma_f32_16x16x16_bf16 a[116:119], a[98:99], v[76:77], a[116:119]// 0000000087DC: D3E18074 0DD29962
	buffer_atomic_add_f32 v156, v6, s[32:35], 0 idxen          // 0000000087E4: E1342000 80089C06
	v_mfma_f32_16x16x16_bf16 a[120:123], a[100:101], v[76:77], a[120:123]// 0000000087EC: D3E18078 0DE29964
	s_waitcnt lgkmcnt(8)                                       // 0000000087F4: BF8CC87F
	s_barrier                                                  // 0000000087F8: BF8A0000
	v_mfma_f32_16x16x16_bf16 a[124:127], a[102:103], v[76:77], a[124:127]// 0000000087FC: D3E1807C 0DF29966
	v_mfma_f32_16x16x16_bf16 a[128:131], a[96:97], v[78:79], a[128:131]// 000000008804: D3E18080 0E029D60
	ds_read_b128 v[52:55], v19 offset:17408                    // 00000000880C: D9FE4400 34000013
	v_mfma_f32_16x16x16_bf16 a[132:135], a[98:99], v[78:79], a[132:135]// 000000008814: D3E18084 0E129D62
	v_mfma_f32_16x16x16_bf16 a[136:139], a[100:101], v[78:79], a[136:139]// 00000000881C: D3E18088 0E229D64
	ds_read_b128 v[56:59], v19 offset:18560                    // 000000008824: D9FE4880 38000013
	v_mfma_f32_16x16x16_bf16 a[140:143], a[102:103], v[78:79], a[140:143]// 00000000882C: D3E1808C 0E329D66
	buffer_atomic_add_f32 v157, v7, s[32:35], 0 idxen          // 000000008834: E1342000 80089D07
	v_mfma_f32_16x16x16_bf16 a[144:147], a[96:97], v[80:81], a[144:147]// 00000000883C: D3E18090 0E42A160
	ds_read_b128 v[60:63], v19 offset:19712                    // 000000008844: D9FE4D00 3C000013
	v_mfma_f32_16x16x16_bf16 a[148:151], a[98:99], v[80:81], a[148:151]// 00000000884C: D3E18094 0E52A162
	v_mfma_f32_16x16x16_bf16 a[152:155], a[100:101], v[80:81], a[152:155]// 000000008854: D3E18098 0E62A164
	ds_read_b128 v[64:67], v19 offset:20864                    // 00000000885C: D9FE5180 40000013
	v_mfma_f32_16x16x16_bf16 a[156:159], a[102:103], v[80:81], a[156:159]// 000000008864: D3E1809C 0E72A166
	v_mfma_f32_16x16x16_bf16 a[112:115], a[104:105], v[82:83], a[112:115]// 00000000886C: D3E18070 0DC2A568
	ds_read_b128 v[68:71], v19 offset:22016                    // 000000008874: D9FE5600 44000013
	v_mfma_f32_16x16x16_bf16 a[116:119], a[106:107], v[82:83], a[116:119]// 00000000887C: D3E18074 0DD2A56A
	buffer_atomic_add_f32 v158, v6, s[32:35], 0 idxen offset:128// 000000008884: E1342080 80089E06
	v_mfma_f32_16x16x16_bf16 a[120:123], a[108:109], v[82:83], a[120:123]// 00000000888C: D3E18078 0DE2A56C
	ds_read_b128 v[72:75], v19 offset:23168                    // 000000008894: D9FE5A80 48000013
	v_mfma_f32_16x16x16_bf16 a[124:127], a[110:111], v[82:83], a[124:127]// 00000000889C: D3E1807C 0DF2A56E
	v_mfma_f32_16x16x16_bf16 a[128:131], a[104:105], v[84:85], a[128:131]// 0000000088A4: D3E18080 0E02A968
	ds_write_b32 v15, v104 offset:13056                        // 0000000088AC: D81A3300 0000680F
	v_mfma_f32_16x16x16_bf16 a[132:135], a[106:107], v[84:85], a[132:135]// 0000000088B4: D3E18084 0E12A96A
	v_mfma_f32_16x16x16_bf16 a[136:139], a[108:109], v[84:85], a[136:139]// 0000000088BC: D3E18088 0E22A96C
	ds_write_b32 v15, v105 offset:14112                        // 0000000088C4: D81A3720 0000690F
	v_mfma_f32_16x16x16_bf16 a[140:143], a[110:111], v[84:85], a[140:143]// 0000000088CC: D3E1808C 0E32A96E
	buffer_atomic_add_f32 v159, v7, s[32:35], 0 idxen offset:128// 0000000088D4: E1342080 80089F07
	v_mfma_f32_16x16x16_bf16 a[144:147], a[104:105], v[86:87], a[144:147]// 0000000088DC: D3E18090 0E42AD68
	ds_write_b32 v15, v106 offset:15232                        // 0000000088E4: D81A3B80 00006A0F
	v_mfma_f32_16x16x16_bf16 a[148:151], a[106:107], v[86:87], a[148:151]// 0000000088EC: D3E18094 0E52AD6A
	v_mfma_f32_16x16x16_bf16 a[152:155], a[108:109], v[86:87], a[152:155]// 0000000088F4: D3E18098 0E62AD6C
	ds_write_b32 v15, v107 offset:16288                        // 0000000088FC: D81A3FA0 00006B0F
	v_mfma_f32_16x16x16_bf16 a[156:159], a[110:111], v[86:87], a[156:159]// 000000008904: D3E1809C 0E72AD6E
	s_waitcnt vmcnt(8) lgkmcnt(4)                              // 00000000890C: BF8C0478
	s_barrier                                                  // 000000008910: BF8A0000
	v_mfma_f32_16x16x16_bf16 v[148:151], v[52:53], a[24:25], 0 // 000000008914: D3E10094 12023134
	ds_read_b128 a[96:99], v12                                 // 00000000891C: DBFE0000 6000000C
	buffer_load_dword v40, v1, s[8:11], 0 idxen                // 000000008924: E0502000 80022801
	v_mfma_f32_16x16x16_bf16 v[148:151], v[54:55], a[28:29], v[148:151]// 00000000892C: D3E10094 16523936
	v_mul_f32_e32 v140, s48, v140                              // 000000008934: 0B191830
	v_mul_f32_e32 v144, s48, v144                              // 000000008938: 0B212030
	s_nop 0                                                    // 00000000893C: BF800000
	v_mfma_f32_16x16x16_bf16 v[148:151], v[56:57], a[32:33], v[148:151]// 000000008940: D3E10094 16524138
	ds_read_b128 a[100:103], v12 offset:512                    // 000000008948: DBFE0200 6400000C
	buffer_load_dword v41, v2, s[8:11], 0 idxen                // 000000008950: E0502000 80022902
	v_mfma_f32_16x16x16_bf16 v[148:151], v[58:59], a[36:37], v[148:151]// 000000008958: D3E10094 1652493A
	v_mfma_f32_16x16x16_bf16 v[148:151], v[60:61], a[40:41], v[148:151]// 000000008960: D3E10094 1652513C
	ds_read_b128 a[104:107], v12 offset:2176                   // 000000008968: DBFE0880 6800000C
	buffer_load_dword v42, v3, s[8:11], 0 idxen                // 000000008970: E0502000 80022A03
	v_mfma_f32_16x16x16_bf16 v[148:151], v[62:63], a[44:45], v[148:151]// 000000008978: D3E10094 1652593E
	v_perm_b32 v100, v37, v36, s63                             // 000000008980: D1ED0064 00FE4925
	v_perm_b32 v101, v37, v36, s64                             // 000000008988: D1ED0065 01024925
	v_mfma_f32_16x16x16_bf16 v[148:151], v[64:65], a[48:49], v[148:151]// 000000008990: D3E10094 16526140
	ds_read_b128 a[108:111], v12 offset:2688                   // 000000008998: DBFE0A80 6C00000C
	buffer_load_dword v43, v4, s[8:11], 0 idxen                // 0000000089A0: E0502000 80022B04
	v_mfma_f32_16x16x16_bf16 v[148:151], v[66:67], a[52:53], v[148:151]// 0000000089A8: D3E10094 16526942
	v_perm_b32 v102, v39, v38, s63                             // 0000000089B0: D1ED0066 00FE4D27
	v_perm_b32 v103, v39, v38, s64                             // 0000000089B8: D1ED0067 01024D27
	v_mfma_f32_16x16x16_bf16 v[148:151], v[68:69], a[56:57], v[148:151]// 0000000089C0: D3E10094 16527144
	ds_read_b128 v[108:111], v12 offset:8704                   // 0000000089C8: D9FE2200 6C00000C
	buffer_load_dword v48, v232, s[20:23], 0 idxen             // 0000000089D0: E0502000 800530E8
	v_mfma_f32_16x16x16_bf16 v[148:151], v[70:71], a[60:61], v[148:151]// 0000000089D8: D3E10094 16527946
	v_perm_b32 v104, v45, v44, s63                             // 0000000089E0: D1ED0068 00FE592D
	v_perm_b32 v105, v45, v44, s64                             // 0000000089E8: D1ED0069 0102592D
	v_mfma_f32_16x16x16_bf16 v[148:151], v[72:73], a[64:65], v[148:151]// 0000000089F0: D3E10094 16528148
	ds_read_b128 v[112:115], v12 offset:9216                   // 0000000089F8: D9FE2400 7000000C
	buffer_load_dword v49, v233, s[20:23], 0 idxen             // 000000008A00: E0502000 800531E9
	v_mfma_f32_16x16x16_bf16 v[148:151], v[74:75], a[68:69], v[148:151]// 000000008A08: D3E10094 1652894A
	v_perm_b32 v106, v47, v46, s63                             // 000000008A10: D1ED006A 00FE5D2F
	v_perm_b32 v107, v47, v46, s64                             // 000000008A18: D1ED006B 01025D2F
	v_mfma_f32_16x16x16_bf16 v[152:155], v[52:53], a[26:27], 0 // 000000008A20: D3E10098 12023534
	ds_read_b128 v[116:119], v12 offset:10880                  // 000000008A28: D9FE2A80 7400000C
	buffer_load_dword v50, v234, s[20:23], 0 idxen             // 000000008A30: E0502000 800532EA
	v_mfma_f32_16x16x16_bf16 v[152:155], v[54:55], a[30:31], v[152:155]// 000000008A38: D3E10098 16623D36
	v_mov_b32_dpp v143, v140 quad_perm:[3,3,3,3] row_mask:0xf bank_mask:0xf// 000000008A40: 7F1E02FA FF00FF8C
	v_mov_b32_dpp v142, v140 quad_perm:[2,2,2,2] row_mask:0xf bank_mask:0xf// 000000008A48: 7F1C02FA FF00AA8C
	v_mov_b32_dpp v141, v140 quad_perm:[1,1,1,1] row_mask:0xf bank_mask:0xf// 000000008A50: 7F1A02FA FF00558C
	v_mov_b32_dpp v140, v140 quad_perm:[0,0,0,0] row_mask:0xf bank_mask:0xf// 000000008A58: 7F1802FA FF00008C
	v_mfma_f32_16x16x16_bf16 v[152:155], v[56:57], a[34:35], v[152:155]// 000000008A60: D3E10098 16624538
	ds_read_b128 v[120:123], v12 offset:11392                  // 000000008A68: D9FE2C80 7800000C
	buffer_load_dword v51, v235, s[20:23], 0 idxen             // 000000008A70: E0502000 800533EB
	v_mfma_f32_16x16x16_bf16 v[152:155], v[58:59], a[38:39], v[152:155]// 000000008A78: D3E10098 16624D3A
	v_mov_b32_dpp v147, v144 quad_perm:[3,3,3,3] row_mask:0xf bank_mask:0xf// 000000008A80: 7F2602FA FF00FF90
	v_mov_b32_dpp v146, v144 quad_perm:[2,2,2,2] row_mask:0xf bank_mask:0xf// 000000008A88: 7F2402FA FF00AA90
	v_mov_b32_dpp v145, v144 quad_perm:[1,1,1,1] row_mask:0xf bank_mask:0xf// 000000008A90: 7F2202FA FF005590
	v_mov_b32_dpp v144, v144 quad_perm:[0,0,0,0] row_mask:0xf bank_mask:0xf// 000000008A98: 7F2002FA FF000090
	s_add_u32 s60, 0x80, s59                                   // 000000008AA0: 803C3BFF 00000080
	v_mfma_f32_16x16x16_bf16 v[152:155], v[60:61], a[42:43], v[152:155]// 000000008AA8: D3E10098 1662553C
	buffer_load_dword v11, s[24:27], 0 idxen lds               // 000000008AB0: E0512000 8006000B
	v_mfma_f32_16x16x16_bf16 v[152:155], v[62:63], a[46:47], v[152:155]// 000000008AB8: D3E10098 16625D3E
	s_cmp_lt_u32 s60, s58                                      // 000000008AC0: BF0A3A3C
	s_cselect_b32 s68, s68, 0                                  // 000000008AC4: 85448044
	s_cselect_b32 s99, s99, 0                                  // 000000008AC8: 85638063
	s_cselect_b32 s69, s69, 0                                  // 000000008ACC: 85458045
	v_mfma_f32_16x16x16_bf16 v[152:155], v[64:65], a[50:51], v[152:155]// 000000008AD0: D3E10098 16626540
	v_add_u32_e32 v1, s68, v1                                  // 000000008AD8: 68020244
	v_add_u32_e32 v2, s68, v2                                  // 000000008ADC: 68040444
	v_add_u32_e32 v3, s68, v3                                  // 000000008AE0: 68060644
	v_add_u32_e32 v4, s68, v4                                  // 000000008AE4: 68080844
	v_mfma_f32_16x16x16_bf16 v[152:155], v[66:67], a[54:55], v[152:155]// 000000008AE8: D3E10098 16626D42
	v_add_u32_e32 v232, s99, v232                              // 000000008AF0: 69D1D063
	v_add_u32_e32 v233, s99, v233                              // 000000008AF4: 69D3D263
	v_add_u32_e32 v234, s99, v234                              // 000000008AF8: 69D5D463
	v_add_u32_e32 v235, s99, v235                              // 000000008AFC: 69D7D663
	v_mfma_f32_16x16x16_bf16 v[152:155], v[68:69], a[58:59], v[152:155]// 000000008B00: D3E10098 16627544
	s_mov_b32 m0, s80                                          // 000000008B08: BEFC0050
	v_add_u32_e32 v11, s69, v11                                // 000000008B0C: 68161645
	v_mfma_f32_16x16x16_bf16 v[152:155], v[70:71], a[62:63], v[152:155]// 000000008B10: D3E10098 16627D46
	s_cmp_ge_u32 s59, s73                                      // 000000008B18: BF09493B
	s_cselect_b32 s66, s67, s66                                // 000000008B1C: 85424243
	v_mfma_f32_16x16x16_bf16 v[152:155], v[72:73], a[66:67], v[152:155]// 000000008B20: D3E10098 16628548
	s_addk_i32 s59, 0x20                                       // 000000008B28: B73B0020
	s_nop 0                                                    // 000000008B2C: BF800000
	s_cmp_lt_i32 s59, s58                                      // 000000008B30: BF043A3B
	v_mfma_f32_16x16x16_bf16 v[152:155], v[74:75], a[70:71], v[152:155]// 000000008B34: D3E10098 16628D4A
	s_cbranch_scc0 label_0EB5                                  // 000000008B3C: BF84FBD3
	s_waitcnt lgkmcnt(0)                                       // 000000008B40: BF8CC07F
	s_barrier                                                  // 000000008B44: BF8A0000
	v_mfma_f32_16x16x16_bf16 v[52:55], a[96:97], a[0:1], 0     // 000000008B48: D3E10034 1A020160
	v_mul_f32_e32 v148, s47, v148                              // 000000008B50: 0B29282F
	v_mul_f32_e32 v149, s47, v149                              // 000000008B54: 0B2B2A2F
	v_mfma_f32_16x16x16_bf16 v[52:55], a[98:99], a[2:3], v[52:55]// 000000008B58: D3E10034 1CD20562
	ds_write_b32 v13, v44 offset:8704                          // 000000008B60: D81A2200 00002C0D
	ds_write_b32 v13, v45 offset:9760                          // 000000008B68: D81A2620 00002D0D
	v_mfma_f32_16x16x16_bf16 v[52:55], a[100:101], a[4:5], v[52:55]// 000000008B70: D3E10034 1CD20964
	v_mul_f32_e32 v150, s47, v150                              // 000000008B78: 0B2D2C2F
	v_mul_f32_e32 v151, s47, v151                              // 000000008B7C: 0B2F2E2F
	v_mfma_f32_16x16x16_bf16 v[52:55], a[102:103], a[6:7], v[52:55]// 000000008B80: D3E10034 1CD20D66
	ds_write_b32 v13, v46 offset:10880                         // 000000008B88: D81A2A80 00002E0D
	ds_write_b32 v13, v47 offset:11936                         // 000000008B90: D81A2EA0 00002F0D
	v_mfma_f32_16x16x16_bf16 v[56:59], a[96:97], a[8:9], 0     // 000000008B98: D3E10038 1A021160
	v_mul_f32_e32 v152, s47, v152                              // 000000008BA0: 0B31302F
	v_mul_f32_e32 v153, s47, v153                              // 000000008BA4: 0B33322F
	v_mfma_f32_16x16x16_bf16 v[56:59], a[98:99], a[10:11], v[56:59]// 000000008BA8: D3E10038 1CE21562
	ds_write_b64 v22, v[148:149] offset:31232                  // 000000008BB0: D89A7A00 00009416
	v_mfma_f32_16x16x16_bf16 v[56:59], a[100:101], a[12:13], v[56:59]// 000000008BB8: D3E10038 1CE21964
	v_mul_f32_e32 v154, s47, v154                              // 000000008BC0: 0B35342F
	v_mul_f32_e32 v155, s47, v155                              // 000000008BC4: 0B37362F
	v_mfma_f32_16x16x16_bf16 v[56:59], a[102:103], a[14:15], v[56:59]// 000000008BC8: D3E10038 1CE21D66
	ds_write_b64 v22, v[150:151] offset:31744                  // 000000008BD0: D89A7C00 00009616
	v_mfma_f32_16x16x16_bf16 v[60:63], a[96:97], a[16:17], 0   // 000000008BD8: D3E1003C 1A022160
	buffer_atomic_add_f32 v160, v8, s[32:35], 0 idxen          // 000000008BE0: E1342000 8008A008
	v_mfma_f32_16x16x16_bf16 v[60:63], a[98:99], a[18:19], v[60:63]// 000000008BE8: D3E1003C 1CF22562
	ds_write_b64 v22, v[152:153] offset:32256                  // 000000008BF0: D89A7E00 00009816
	v_mfma_f32_16x16x16_bf16 v[60:63], a[100:101], a[20:21], v[60:63]// 000000008BF8: D3E1003C 1CF22964
	v_mfma_f32_16x16x16_bf16 v[60:63], a[102:103], a[22:23], v[60:63]// 000000008C00: D3E1003C 1CF22D66
	ds_write_b64 v22, v[154:155] offset:32768                  // 000000008C08: D89A8000 00009A16
	v_mfma_f32_16x16x16_bf16 v[64:67], a[104:105], a[0:1], 0   // 000000008C10: D3E10040 1A020168
	buffer_atomic_add_f32 v161, v9, s[32:35], 0 idxen          // 000000008C18: E1342000 8008A109
	v_mfma_f32_16x16x16_bf16 v[64:67], a[106:107], a[2:3], v[64:67]// 000000008C20: D3E10040 1D02056A
	ds_read_b128 v[124:127], v14 offset:13056                  // 000000008C28: D9FE3300 7C00000E
	ds_write_b32 v13, v36                                      // 000000008C30: D81A0000 0000240D
	v_mfma_f32_16x16x16_bf16 v[64:67], a[108:109], a[4:5], v[64:67]// 000000008C38: D3E10040 1D02096C
	v_mfma_f32_16x16x16_bf16 v[64:67], a[110:111], a[6:7], v[64:67]// 000000008C40: D3E10040 1D020D6E
	v_mfma_f32_16x16x16_bf16 v[68:71], a[104:105], a[8:9], 0   // 000000008C48: D3E10044 1A021168
	ds_read_b128 v[128:131], v14 offset:13568                  // 000000008C50: D9FE3500 8000000E
	ds_write_b32 v13, v37 offset:1056                          // 000000008C58: D81A0420 0000250D
	v_mfma_f32_16x16x16_bf16 v[68:71], a[106:107], a[10:11], v[68:71]// 000000008C60: D3E10044 1D12156A
	buffer_atomic_add_f32 v162, v8, s[32:35], 0 idxen offset:128// 000000008C68: E1342080 8008A208
	v_mfma_f32_16x16x16_bf16 v[68:71], a[108:109], a[12:13], v[68:71]// 000000008C70: D3E10044 1D12196C
	v_mfma_f32_16x16x16_bf16 v[68:71], a[110:111], a[14:15], v[68:71]// 000000008C78: D3E10044 1D121D6E
	ds_read_b128 v[132:135], v14 offset:15232                  // 000000008C80: D9FE3B80 8400000E
	ds_write_b32 v13, v38 offset:2176                          // 000000008C88: D81A0880 0000260D
	v_mfma_f32_16x16x16_bf16 v[72:75], a[104:105], a[16:17], 0 // 000000008C90: D3E10048 1A022168
	v_mfma_f32_16x16x16_bf16 v[72:75], a[106:107], a[18:19], v[72:75]// 000000008C98: D3E10048 1D22256A
	buffer_atomic_add_f32 v163, v9, s[32:35], 0 idxen offset:128// 000000008CA0: E1342080 8008A309
	v_mfma_f32_16x16x16_bf16 v[72:75], a[108:109], a[20:21], v[72:75]// 000000008CA8: D3E10048 1D22296C
	ds_read_b128 v[136:139], v14 offset:15744                  // 000000008CB0: D9FE3D80 8800000E
	ds_write_b32 v13, v39 offset:3232                          // 000000008CB8: D81A0CA0 0000270D
	v_mfma_f32_16x16x16_bf16 v[72:75], a[110:111], a[22:23], v[72:75]// 000000008CC0: D3E10048 1D222D6E
	s_cmp_lt_i32 s74, 12                                       // 000000008CC8: BF048C4A
	s_cbranch_scc0 label_1435                                  // 000000008CCC: BF8400E6
	s_mov_b32 s60, 0xffe0fffe                                  // 000000008CD0: BEBC00FF FFE0FFFE
	s_mov_b32 s61, 0xe000fe00                                  // 000000008CD8: BEBD00FF E000FE00
	s_nop 0                                                    // 000000008CE0: BF800000
	s_add_u32 s62, 0, s46                                      // 000000008CE4: 803E2E80
	s_cmp_lt_i32 s74, s62                                      // 000000008CE8: BF043E4A
	s_cbranch_scc1 label_137F                                  // 000000008CEC: BF850028
	s_cmp_eq_i32 s74, s62                                      // 000000008CF0: BF003E4A
	s_cbranch_scc1 label_1364                                  // 000000008CF4: BF85000B
	s_add_u32 s62, 4, s46                                      // 000000008CF8: 803E2E84
	s_cmp_lt_i32 s74, s62                                      // 000000008CFC: BF043E4A
	s_cbranch_scc1 label_139F                                  // 000000008D00: BF850043
	s_cmp_eq_i32 s74, s62                                      // 000000008D04: BF003E4A
	s_cbranch_scc1 label_1384                                  // 000000008D08: BF850026
	s_add_u32 s62, 8, s46                                      // 000000008D0C: 803E2E88
	s_cmp_lt_i32 s74, s62                                      // 000000008D10: BF043E4A
	s_cbranch_scc1 label_13BF                                  // 000000008D14: BF85005E
	s_cmp_eq_i32 s74, s62                                      // 000000008D18: BF003E4A
	s_cbranch_scc1 label_13A4                                  // 000000008D1C: BF850041
	s_branch label_13C4                                        // 000000008D20: BF820060

0000000000008d24 <label_1364>:
	v_cndmask_b32_e64 v52, v52, v178, s[60:61]                 // 000000008D24: D1000034 00F36534
	s_lshl_b32 s60, s60, 1                                     // 000000008D2C: 8E3C813C
	s_lshl_b32 s61, s61, 1                                     // 000000008D30: 8E3D813D
	s_and_b32 s60, 0xfffeffff, s60                             // 000000008D34: 863C3CFF FFFEFFFF
	s_and_b32 s61, 0xfffeffff, s61                             // 000000008D3C: 863D3DFF FFFEFFFF
	v_cndmask_b32_e64 v53, v53, v178, s[60:61]                 // 000000008D44: D1000035 00F36535
	s_lshl_b32 s60, s60, 1                                     // 000000008D4C: 8E3C813C
	s_lshl_b32 s61, s61, 1                                     // 000000008D50: 8E3D813D
	s_and_b32 s60, 0xfffeffff, s60                             // 000000008D54: 863C3CFF FFFEFFFF
	s_and_b32 s61, 0xfffeffff, s61                             // 000000008D5C: 863D3DFF FFFEFFFF
	v_cndmask_b32_e64 v54, v54, v178, s[60:61]                 // 000000008D64: D1000036 00F36536
	s_lshl_b32 s60, s60, 1                                     // 000000008D6C: 8E3C813C
	s_lshl_b32 s61, s61, 1                                     // 000000008D70: 8E3D813D
	s_and_b32 s60, 0xfffeffff, s60                             // 000000008D74: 863C3CFF FFFEFFFF
	s_and_b32 s61, 0xfffeffff, s61                             // 000000008D7C: 863D3DFF FFFEFFFF
	v_cndmask_b32_e64 v55, v55, v178, s[60:61]                 // 000000008D84: D1000037 00F36537
	s_branch label_139F                                        // 000000008D8C: BF820020

0000000000008d90 <label_137F>:
	v_mov_b32_e32 v52, v178                                    // 000000008D90: 7E6803B2
	v_mov_b32_e32 v53, v178                                    // 000000008D94: 7E6A03B2
	v_mov_b32_e32 v54, v178                                    // 000000008D98: 7E6C03B2
	v_mov_b32_e32 v55, v178                                    // 000000008D9C: 7E6E03B2
	s_branch label_139F                                        // 000000008DA0: BF82001B

0000000000008da4 <label_1384>:
	v_cndmask_b32_e64 v56, v56, v178, s[60:61]                 // 000000008DA4: D1000038 00F36538
	s_lshl_b32 s60, s60, 1                                     // 000000008DAC: 8E3C813C
	s_lshl_b32 s61, s61, 1                                     // 000000008DB0: 8E3D813D
	s_and_b32 s60, 0xfffeffff, s60                             // 000000008DB4: 863C3CFF FFFEFFFF
	s_and_b32 s61, 0xfffeffff, s61                             // 000000008DBC: 863D3DFF FFFEFFFF
	v_cndmask_b32_e64 v57, v57, v178, s[60:61]                 // 000000008DC4: D1000039 00F36539
	s_lshl_b32 s60, s60, 1                                     // 000000008DCC: 8E3C813C
	s_lshl_b32 s61, s61, 1                                     // 000000008DD0: 8E3D813D
	s_and_b32 s60, 0xfffeffff, s60                             // 000000008DD4: 863C3CFF FFFEFFFF
	s_and_b32 s61, 0xfffeffff, s61                             // 000000008DDC: 863D3DFF FFFEFFFF
	v_cndmask_b32_e64 v58, v58, v178, s[60:61]                 // 000000008DE4: D100003A 00F3653A
	s_lshl_b32 s60, s60, 1                                     // 000000008DEC: 8E3C813C
	s_lshl_b32 s61, s61, 1                                     // 000000008DF0: 8E3D813D
	s_and_b32 s60, 0xfffeffff, s60                             // 000000008DF4: 863C3CFF FFFEFFFF
	s_and_b32 s61, 0xfffeffff, s61                             // 000000008DFC: 863D3DFF FFFEFFFF
	v_cndmask_b32_e64 v59, v59, v178, s[60:61]                 // 000000008E04: D100003B 00F3653B
	s_branch label_13BF                                        // 000000008E0C: BF820020

0000000000008e10 <label_139F>:
	v_mov_b32_e32 v56, v178                                    // 000000008E10: 7E7003B2
	v_mov_b32_e32 v57, v178                                    // 000000008E14: 7E7203B2
	v_mov_b32_e32 v58, v178                                    // 000000008E18: 7E7403B2
	v_mov_b32_e32 v59, v178                                    // 000000008E1C: 7E7603B2
	s_branch label_13BF                                        // 000000008E20: BF82001B

0000000000008e24 <label_13A4>:
	v_cndmask_b32_e64 v60, v60, v178, s[60:61]                 // 000000008E24: D100003C 00F3653C
	s_lshl_b32 s60, s60, 1                                     // 000000008E2C: 8E3C813C
	s_lshl_b32 s61, s61, 1                                     // 000000008E30: 8E3D813D
	s_and_b32 s60, 0xfffeffff, s60                             // 000000008E34: 863C3CFF FFFEFFFF
	s_and_b32 s61, 0xfffeffff, s61                             // 000000008E3C: 863D3DFF FFFEFFFF
	v_cndmask_b32_e64 v61, v61, v178, s[60:61]                 // 000000008E44: D100003D 00F3653D
	s_lshl_b32 s60, s60, 1                                     // 000000008E4C: 8E3C813C
	s_lshl_b32 s61, s61, 1                                     // 000000008E50: 8E3D813D
	s_and_b32 s60, 0xfffeffff, s60                             // 000000008E54: 863C3CFF FFFEFFFF
	s_and_b32 s61, 0xfffeffff, s61                             // 000000008E5C: 863D3DFF FFFEFFFF
	v_cndmask_b32_e64 v62, v62, v178, s[60:61]                 // 000000008E64: D100003E 00F3653E
	s_lshl_b32 s60, s60, 1                                     // 000000008E6C: 8E3C813C
	s_lshl_b32 s61, s61, 1                                     // 000000008E70: 8E3D813D
	s_and_b32 s60, 0xfffeffff, s60                             // 000000008E74: 863C3CFF FFFEFFFF
	s_and_b32 s61, 0xfffeffff, s61                             // 000000008E7C: 863D3DFF FFFEFFFF
	v_cndmask_b32_e64 v63, v63, v178, s[60:61]                 // 000000008E84: D100003F 00F3653F
	s_branch label_13C4                                        // 000000008E8C: BF820005

0000000000008e90 <label_13BF>:
	v_mov_b32_e32 v60, v178                                    // 000000008E90: 7E7803B2
	v_mov_b32_e32 v61, v178                                    // 000000008E94: 7E7A03B2
	v_mov_b32_e32 v62, v178                                    // 000000008E98: 7E7C03B2
	v_mov_b32_e32 v63, v178                                    // 000000008E9C: 7E7E03B2
	s_branch label_13C4                                        // 000000008EA0: BF820000

0000000000008ea4 <label_13C4>:
	s_addk_i32 s74, 0x1                                        // 000000008EA4: B74A0001
	s_add_u32 s62, 0, s46                                      // 000000008EA8: 803E2E80
	s_cmp_lt_i32 s74, s62                                      // 000000008EAC: BF043E4A
	s_cbranch_scc1 label_13F0                                  // 000000008EB0: BF850028
	s_cmp_eq_i32 s74, s62                                      // 000000008EB4: BF003E4A
	s_cbranch_scc1 label_13D5                                  // 000000008EB8: BF85000B
	s_add_u32 s62, 4, s46                                      // 000000008EBC: 803E2E84
	s_cmp_lt_i32 s74, s62                                      // 000000008EC0: BF043E4A
	s_cbranch_scc1 label_1410                                  // 000000008EC4: BF850043
	s_cmp_eq_i32 s74, s62                                      // 000000008EC8: BF003E4A
	s_cbranch_scc1 label_13F5                                  // 000000008ECC: BF850026
	s_add_u32 s62, 8, s46                                      // 000000008ED0: 803E2E88
	s_cmp_lt_i32 s74, s62                                      // 000000008ED4: BF043E4A
	s_cbranch_scc1 label_1430                                  // 000000008ED8: BF85005E
	s_cmp_eq_i32 s74, s62                                      // 000000008EDC: BF003E4A
	s_cbranch_scc1 label_1415                                  // 000000008EE0: BF850041
	s_branch label_1435                                        // 000000008EE4: BF820060

0000000000008ee8 <label_13D5>:
	v_cndmask_b32_e64 v64, v64, v178, s[60:61]                 // 000000008EE8: D1000040 00F36540
	s_lshl_b32 s60, s60, 1                                     // 000000008EF0: 8E3C813C
	s_lshl_b32 s61, s61, 1                                     // 000000008EF4: 8E3D813D
	s_and_b32 s60, 0xfffeffff, s60                             // 000000008EF8: 863C3CFF FFFEFFFF
	s_and_b32 s61, 0xfffeffff, s61                             // 000000008F00: 863D3DFF FFFEFFFF
	v_cndmask_b32_e64 v65, v65, v178, s[60:61]                 // 000000008F08: D1000041 00F36541
	s_lshl_b32 s60, s60, 1                                     // 000000008F10: 8E3C813C
	s_lshl_b32 s61, s61, 1                                     // 000000008F14: 8E3D813D
	s_and_b32 s60, 0xfffeffff, s60                             // 000000008F18: 863C3CFF FFFEFFFF
	s_and_b32 s61, 0xfffeffff, s61                             // 000000008F20: 863D3DFF FFFEFFFF
	v_cndmask_b32_e64 v66, v66, v178, s[60:61]                 // 000000008F28: D1000042 00F36542
	s_lshl_b32 s60, s60, 1                                     // 000000008F30: 8E3C813C
	s_lshl_b32 s61, s61, 1                                     // 000000008F34: 8E3D813D
	s_and_b32 s60, 0xfffeffff, s60                             // 000000008F38: 863C3CFF FFFEFFFF
	s_and_b32 s61, 0xfffeffff, s61                             // 000000008F40: 863D3DFF FFFEFFFF
	v_cndmask_b32_e64 v67, v67, v178, s[60:61]                 // 000000008F48: D1000043 00F36543
	s_branch label_1410                                        // 000000008F50: BF820020

0000000000008f54 <label_13F0>:
	v_mov_b32_e32 v64, v178                                    // 000000008F54: 7E8003B2
	v_mov_b32_e32 v65, v178                                    // 000000008F58: 7E8203B2
	v_mov_b32_e32 v66, v178                                    // 000000008F5C: 7E8403B2
	v_mov_b32_e32 v67, v178                                    // 000000008F60: 7E8603B2
	s_branch label_1410                                        // 000000008F64: BF82001B

0000000000008f68 <label_13F5>:
	v_cndmask_b32_e64 v68, v68, v178, s[60:61]                 // 000000008F68: D1000044 00F36544
	s_lshl_b32 s60, s60, 1                                     // 000000008F70: 8E3C813C
	s_lshl_b32 s61, s61, 1                                     // 000000008F74: 8E3D813D
	s_and_b32 s60, 0xfffeffff, s60                             // 000000008F78: 863C3CFF FFFEFFFF
	s_and_b32 s61, 0xfffeffff, s61                             // 000000008F80: 863D3DFF FFFEFFFF
	v_cndmask_b32_e64 v69, v69, v178, s[60:61]                 // 000000008F88: D1000045 00F36545
	s_lshl_b32 s60, s60, 1                                     // 000000008F90: 8E3C813C
	s_lshl_b32 s61, s61, 1                                     // 000000008F94: 8E3D813D
	s_and_b32 s60, 0xfffeffff, s60                             // 000000008F98: 863C3CFF FFFEFFFF
	s_and_b32 s61, 0xfffeffff, s61                             // 000000008FA0: 863D3DFF FFFEFFFF
	v_cndmask_b32_e64 v70, v70, v178, s[60:61]                 // 000000008FA8: D1000046 00F36546
	s_lshl_b32 s60, s60, 1                                     // 000000008FB0: 8E3C813C
	s_lshl_b32 s61, s61, 1                                     // 000000008FB4: 8E3D813D
	s_and_b32 s60, 0xfffeffff, s60                             // 000000008FB8: 863C3CFF FFFEFFFF
	s_and_b32 s61, 0xfffeffff, s61                             // 000000008FC0: 863D3DFF FFFEFFFF
	v_cndmask_b32_e64 v71, v71, v178, s[60:61]                 // 000000008FC8: D1000047 00F36547
	s_branch label_1430                                        // 000000008FD0: BF820020

0000000000008fd4 <label_1410>:
	v_mov_b32_e32 v68, v178                                    // 000000008FD4: 7E8803B2
	v_mov_b32_e32 v69, v178                                    // 000000008FD8: 7E8A03B2
	v_mov_b32_e32 v70, v178                                    // 000000008FDC: 7E8C03B2
	v_mov_b32_e32 v71, v178                                    // 000000008FE0: 7E8E03B2
	s_branch label_1430                                        // 000000008FE4: BF82001B

0000000000008fe8 <label_1415>:
	v_cndmask_b32_e64 v72, v72, v178, s[60:61]                 // 000000008FE8: D1000048 00F36548
	s_lshl_b32 s60, s60, 1                                     // 000000008FF0: 8E3C813C
	s_lshl_b32 s61, s61, 1                                     // 000000008FF4: 8E3D813D
	s_and_b32 s60, 0xfffeffff, s60                             // 000000008FF8: 863C3CFF FFFEFFFF
	s_and_b32 s61, 0xfffeffff, s61                             // 000000009000: 863D3DFF FFFEFFFF
	v_cndmask_b32_e64 v73, v73, v178, s[60:61]                 // 000000009008: D1000049 00F36549
	s_lshl_b32 s60, s60, 1                                     // 000000009010: 8E3C813C
	s_lshl_b32 s61, s61, 1                                     // 000000009014: 8E3D813D
	s_and_b32 s60, 0xfffeffff, s60                             // 000000009018: 863C3CFF FFFEFFFF
	s_and_b32 s61, 0xfffeffff, s61                             // 000000009020: 863D3DFF FFFEFFFF
	v_cndmask_b32_e64 v74, v74, v178, s[60:61]                 // 000000009028: D100004A 00F3654A
	s_lshl_b32 s60, s60, 1                                     // 000000009030: 8E3C813C
	s_lshl_b32 s61, s61, 1                                     // 000000009034: 8E3D813D
	s_and_b32 s60, 0xfffeffff, s60                             // 000000009038: 863C3CFF FFFEFFFF
	s_and_b32 s61, 0xfffeffff, s61                             // 000000009040: 863D3DFF FFFEFFFF
	v_cndmask_b32_e64 v75, v75, v178, s[60:61]                 // 000000009048: D100004B 00F3654B
	s_branch label_1435                                        // 000000009050: BF820005

0000000000009054 <label_1430>:
	v_mov_b32_e32 v72, v178                                    // 000000009054: 7E9003B2
	v_mov_b32_e32 v73, v178                                    // 000000009058: 7E9203B2
	v_mov_b32_e32 v74, v178                                    // 00000000905C: 7E9403B2
	v_mov_b32_e32 v75, v178                                    // 000000009060: 7E9603B2
	s_branch label_1435                                        // 000000009064: BF820000

0000000000009068 <label_1435>:
	s_cmp_lt_i32 s101, 0xc0                                    // 000000009068: BF04FF65 000000C0
	s_cbranch_scc0 label_14AE                                  // 000000009070: BF84006D
	s_cmp_le_i32 s101, 64                                      // 000000009074: BF05C065
	s_cbranch_scc1 label_1441                                  // 000000009078: BF850007
	s_cmp_le_i32 s101, 0x80                                    // 00000000907C: BF05FF65 00000080
	s_cbranch_scc1 label_1465                                  // 000000009084: BF85001F
	s_cmp_lt_i32 s101, 0xc0                                    // 000000009088: BF04FF65 000000C0
	s_cbranch_scc1 label_1489                                  // 000000009090: BF850040
	s_branch label_14AE                                        // 000000009094: BF820064

0000000000009098 <label_1441>:
	s_mov_b32 s60, 0                                           // 000000009098: BEBC0080
	v_and_b32_e32 v32, 15, v0                                  // 00000000909C: 2640008F
	v_add_u32_e64 v32, v32, s60                                // 0000000090A0: D1340020 00007920
	v_mul_i32_i24_e64 v33, s46, 16                             // 0000000090A8: D1060021 0001202E
	v_add_u32_e32 v32, v32, v33                                // 0000000090B0: 68404320
	v_cmp_lt_u32_e64 s[60:61], v32, s101                       // 0000000090B4: D0C9003C 0000CB20
	s_nop 1                                                    // 0000000090BC: BF800001
	v_cndmask_b32_e64 v52, v178, v52, s[60:61]                 // 0000000090C0: D1000034 00F269B2
	v_cndmask_b32_e64 v64, v178, v64, s[60:61]                 // 0000000090C8: D1000040 00F281B2
	v_cndmask_b32_e64 v53, v178, v53, s[60:61]                 // 0000000090D0: D1000035 00F26BB2
	v_cndmask_b32_e64 v65, v178, v65, s[60:61]                 // 0000000090D8: D1000041 00F283B2
	v_cndmask_b32_e64 v54, v178, v54, s[60:61]                 // 0000000090E0: D1000036 00F26DB2
	v_cndmask_b32_e64 v66, v178, v66, s[60:61]                 // 0000000090E8: D1000042 00F285B2
	v_cndmask_b32_e64 v55, v178, v55, s[60:61]                 // 0000000090F0: D1000037 00F26FB2
	v_cndmask_b32_e64 v67, v178, v67, s[60:61]                 // 0000000090F8: D1000043 00F287B2
	s_branch label_1480                                        // 000000009100: BF82001B

0000000000009104 <label_1465>:
	s_mov_b32 s60, 64                                          // 000000009104: BEBC00C0
	v_and_b32_e32 v32, 15, v0                                  // 000000009108: 2640008F
	v_add_u32_e64 v32, v32, s60                                // 00000000910C: D1340020 00007920
	v_mul_i32_i24_e64 v33, s46, 16                             // 000000009114: D1060021 0001202E
	v_add_u32_e32 v32, v32, v33                                // 00000000911C: 68404320
	v_cmp_lt_u32_e64 s[60:61], v32, s101                       // 000000009120: D0C9003C 0000CB20
	s_nop 1                                                    // 000000009128: BF800001
	v_cndmask_b32_e64 v56, v178, v56, s[60:61]                 // 00000000912C: D1000038 00F271B2
	v_cndmask_b32_e64 v68, v178, v68, s[60:61]                 // 000000009134: D1000044 00F289B2
	v_cndmask_b32_e64 v57, v178, v57, s[60:61]                 // 00000000913C: D1000039 00F273B2
	v_cndmask_b32_e64 v69, v178, v69, s[60:61]                 // 000000009144: D1000045 00F28BB2
	v_cndmask_b32_e64 v58, v178, v58, s[60:61]                 // 00000000914C: D100003A 00F275B2
	v_cndmask_b32_e64 v70, v178, v70, s[60:61]                 // 000000009154: D1000046 00F28DB2
	v_cndmask_b32_e64 v59, v178, v59, s[60:61]                 // 00000000915C: D100003B 00F277B2
	v_cndmask_b32_e64 v71, v178, v71, s[60:61]                 // 000000009164: D1000047 00F28FB2
	s_branch label_14A5                                        // 00000000916C: BF820025

0000000000009170 <label_1480>:
	v_mov_b32_e32 v56, v178                                    // 000000009170: 7E7003B2
	v_mov_b32_e32 v68, v178                                    // 000000009174: 7E8803B2
	v_mov_b32_e32 v57, v178                                    // 000000009178: 7E7203B2
	v_mov_b32_e32 v69, v178                                    // 00000000917C: 7E8A03B2
	v_mov_b32_e32 v58, v178                                    // 000000009180: 7E7403B2
	v_mov_b32_e32 v70, v178                                    // 000000009184: 7E8C03B2
	v_mov_b32_e32 v59, v178                                    // 000000009188: 7E7603B2
	v_mov_b32_e32 v71, v178                                    // 00000000918C: 7E8E03B2
	s_branch label_14A5                                        // 000000009190: BF82001C

0000000000009194 <label_1489>:
	s_mov_b32 s60, 0x80                                        // 000000009194: BEBC00FF 00000080
	v_and_b32_e32 v32, 15, v0                                  // 00000000919C: 2640008F
	v_add_u32_e64 v32, v32, s60                                // 0000000091A0: D1340020 00007920
	v_mul_i32_i24_e64 v33, s46, 16                             // 0000000091A8: D1060021 0001202E
	v_add_u32_e32 v32, v32, v33                                // 0000000091B0: 68404320
	v_cmp_lt_u32_e64 s[60:61], v32, s101                       // 0000000091B4: D0C9003C 0000CB20
	s_nop 1                                                    // 0000000091BC: BF800001
	v_cndmask_b32_e64 v60, v178, v60, s[60:61]                 // 0000000091C0: D100003C 00F279B2
	v_cndmask_b32_e64 v72, v178, v72, s[60:61]                 // 0000000091C8: D1000048 00F291B2
	v_cndmask_b32_e64 v61, v178, v61, s[60:61]                 // 0000000091D0: D100003D 00F27BB2
	v_cndmask_b32_e64 v73, v178, v73, s[60:61]                 // 0000000091D8: D1000049 00F293B2
	v_cndmask_b32_e64 v62, v178, v62, s[60:61]                 // 0000000091E0: D100003E 00F27DB2
	v_cndmask_b32_e64 v74, v178, v74, s[60:61]                 // 0000000091E8: D100004A 00F295B2
	v_cndmask_b32_e64 v63, v178, v63, s[60:61]                 // 0000000091F0: D100003F 00F27FB2
	v_cndmask_b32_e64 v75, v178, v75, s[60:61]                 // 0000000091F8: D100004B 00F297B2
	s_branch label_14AE                                        // 000000009200: BF820009

0000000000009204 <label_14A5>:
	v_mov_b32_e32 v60, v178                                    // 000000009204: 7E7803B2
	v_mov_b32_e32 v72, v178                                    // 000000009208: 7E9003B2
	v_mov_b32_e32 v61, v178                                    // 00000000920C: 7E7A03B2
	v_mov_b32_e32 v73, v178                                    // 000000009210: 7E9203B2
	v_mov_b32_e32 v62, v178                                    // 000000009214: 7E7C03B2
	v_mov_b32_e32 v74, v178                                    // 000000009218: 7E9403B2
	v_mov_b32_e32 v63, v178                                    // 00000000921C: 7E7E03B2
	v_mov_b32_e32 v75, v178                                    // 000000009220: 7E9603B2
	s_branch label_14AE                                        // 000000009224: BF820000

0000000000009228 <label_14AE>:
	s_addk_i32 s74, 0x1                                        // 000000009228: B74A0001
	s_waitcnt lgkmcnt(8)                                       // 00000000922C: BF8CC87F
	s_barrier                                                  // 000000009230: BF8A0000
	v_mfma_f32_16x16x16_bf16 v[76:79], v[108:109], a[72:73], 0 // 000000009234: D3E1004C 1202916C
	v_fma_f32 v52, v52, s57, -v140                             // 00000000923C: D1CB0034 86307334
	v_fma_f32 v53, v53, s57, -v141                             // 000000009244: D1CB0035 86347335
	v_fma_f32 v54, v54, s57, -v142                             // 00000000924C: D1CB0036 86387336
	v_fma_f32 v55, v55, s57, -v143                             // 000000009254: D1CB0037 863C7337
	v_fma_f32 v56, v56, s57, -v140                             // 00000000925C: D1CB0038 86307338
	v_fma_f32 v57, v57, s57, -v141                             // 000000009264: D1CB0039 86347339
	v_mfma_f32_16x16x16_bf16 v[76:79], v[110:111], a[74:75], v[76:79]// 00000000926C: D3E1004C 1532956E
	ds_read_b128 a[96:99], v14 offset:4352                     // 000000009274: DBFE1100 6000000E
	ds_read_b128 a[100:103], v14 offset:4864                   // 00000000927C: DBFE1300 6400000E
	v_mfma_f32_16x16x16_bf16 v[76:79], v[112:113], a[76:77], v[76:79]// 000000009284: D3E1004C 15329970
	v_fma_f32 v58, v58, s57, -v142                             // 00000000928C: D1CB003A 8638733A
	v_fma_f32 v59, v59, s57, -v143                             // 000000009294: D1CB003B 863C733B
	v_fma_f32 v60, v60, s57, -v140                             // 00000000929C: D1CB003C 8630733C
	v_fma_f32 v61, v61, s57, -v141                             // 0000000092A4: D1CB003D 8634733D
	v_fma_f32 v62, v62, s57, -v142                             // 0000000092AC: D1CB003E 8638733E
	v_fma_f32 v63, v63, s57, -v143                             // 0000000092B4: D1CB003F 863C733F
	v_mfma_f32_16x16x16_bf16 v[76:79], v[114:115], a[78:79], v[76:79]// 0000000092BC: D3E1004C 15329D72
	v_fma_f32 v64, v64, s57, -v144                             // 0000000092C4: D1CB0040 86407340
	v_fma_f32 v65, v65, s57, -v145                             // 0000000092CC: D1CB0041 86447341
	v_fma_f32 v66, v66, s57, -v146                             // 0000000092D4: D1CB0042 86487342
	v_fma_f32 v67, v67, s57, -v147                             // 0000000092DC: D1CB0043 864C7343
	v_fma_f32 v68, v68, s57, -v144                             // 0000000092E4: D1CB0044 86407344
	v_fma_f32 v69, v69, s57, -v145                             // 0000000092EC: D1CB0045 86447345
	v_mfma_f32_16x16x16_bf16 v[80:83], v[108:109], a[80:81], 0 // 0000000092F4: D3E10050 1202A16C
	v_fma_f32 v70, v70, s57, -v146                             // 0000000092FC: D1CB0046 86487346
	v_fma_f32 v71, v71, s57, -v147                             // 000000009304: D1CB0047 864C7347
	v_fma_f32 v72, v72, s57, -v144                             // 00000000930C: D1CB0048 86407348
	v_fma_f32 v73, v73, s57, -v145                             // 000000009314: D1CB0049 86447349
	v_fma_f32 v74, v74, s57, -v146                             // 00000000931C: D1CB004A 8648734A
	v_fma_f32 v75, v75, s57, -v147                             // 000000009324: D1CB004B 864C734B
	v_mfma_f32_16x16x16_bf16 v[80:83], v[110:111], a[82:83], v[80:83]// 00000000932C: D3E10050 1542A56E
	ds_read_b128 a[104:107], v14 offset:6528                   // 000000009334: DBFE1980 6800000E
	ds_read_b128 a[108:111], v14 offset:7040                   // 00000000933C: DBFE1B80 6C00000E
	v_mfma_f32_16x16x16_bf16 v[80:83], v[112:113], a[84:85], v[80:83]// 000000009344: D3E10050 1542A970
	v_exp_f32_e32 v52, v52                                     // 00000000934C: 7E684134
	v_exp_f32_e32 v53, v53                                     // 000000009350: 7E6A4135
	v_mfma_f32_16x16x16_bf16 v[80:83], v[114:115], a[86:87], v[80:83]// 000000009354: D3E10050 1542AD72
	v_exp_f32_e32 v54, v54                                     // 00000000935C: 7E6C4136
	v_exp_f32_e32 v55, v55                                     // 000000009360: 7E6E4137
	v_mfma_f32_16x16x16_bf16 v[84:87], v[108:109], a[88:89], 0 // 000000009364: D3E10054 1202B16C
	v_exp_f32_e32 v56, v56                                     // 00000000936C: 7E704138
	v_exp_f32_e32 v57, v57                                     // 000000009370: 7E724139
	v_mfma_f32_16x16x16_bf16 v[84:87], v[110:111], a[90:91], v[84:87]// 000000009374: D3E10054 1552B56E
	ds_read_b64 v[156:157], v21 offset:31232                   // 00000000937C: D8EC7A00 9C000015
	ds_read_b64 v[158:159], v21 offset:33280                   // 000000009384: D8EC8200 9E000015
	v_mfma_f32_16x16x16_bf16 v[84:87], v[112:113], a[92:93], v[84:87]// 00000000938C: D3E10054 1552B970
	v_exp_f32_e32 v58, v58                                     // 000000009394: 7E74413A
	v_exp_f32_e32 v59, v59                                     // 000000009398: 7E76413B
	v_mfma_f32_16x16x16_bf16 v[84:87], v[114:115], a[94:95], v[84:87]// 00000000939C: D3E10054 1552BD72
	ds_read_b64 v[160:161], v21 offset:35328                   // 0000000093A4: D8EC8A00 A0000015
	ds_read_b64 v[162:163], v21 offset:37376                   // 0000000093AC: D8EC9200 A2000015
	v_mfma_f32_16x16x16_bf16 v[88:91], v[116:117], a[72:73], 0 // 0000000093B4: D3E10058 12029174
	v_exp_f32_e32 v60, v60                                     // 0000000093BC: 7E78413C
	v_exp_f32_e32 v61, v61                                     // 0000000093C0: 7E7A413D
	v_mfma_f32_16x16x16_bf16 v[88:91], v[118:119], a[74:75], v[88:91]// 0000000093C4: D3E10058 15629576
	v_exp_f32_e32 v62, v62                                     // 0000000093CC: 7E7C413E
	v_exp_f32_e32 v63, v63                                     // 0000000093D0: 7E7E413F
	v_mfma_f32_16x16x16_bf16 v[88:91], v[120:121], a[76:77], v[88:91]// 0000000093D4: D3E10058 15629978
	v_exp_f32_e32 v64, v64                                     // 0000000093DC: 7E804140
	v_exp_f32_e32 v65, v65                                     // 0000000093E0: 7E824141
	v_mfma_f32_16x16x16_bf16 v[88:91], v[122:123], a[78:79], v[88:91]// 0000000093E4: D3E10058 15629D7A
	v_exp_f32_e32 v66, v66                                     // 0000000093EC: 7E844142
	v_exp_f32_e32 v67, v67                                     // 0000000093F0: 7E864143
	v_mfma_f32_16x16x16_bf16 v[92:95], v[116:117], a[80:81], 0 // 0000000093F4: D3E1005C 1202A174
	v_exp_f32_e32 v68, v68                                     // 0000000093FC: 7E884144
	v_exp_f32_e32 v69, v69                                     // 000000009400: 7E8A4145
	v_mfma_f32_16x16x16_bf16 v[92:95], v[118:119], a[82:83], v[92:95]// 000000009404: D3E1005C 1572A576
	v_exp_f32_e32 v70, v70                                     // 00000000940C: 7E8C4146
	v_exp_f32_e32 v71, v71                                     // 000000009410: 7E8E4147
	v_mfma_f32_16x16x16_bf16 v[92:95], v[120:121], a[84:85], v[92:95]// 000000009414: D3E1005C 1572A978
	v_exp_f32_e32 v72, v72                                     // 00000000941C: 7E904148
	v_exp_f32_e32 v73, v73                                     // 000000009420: 7E924149
	v_mfma_f32_16x16x16_bf16 v[92:95], v[122:123], a[86:87], v[92:95]// 000000009424: D3E1005C 1572AD7A
	v_exp_f32_e32 v74, v74                                     // 00000000942C: 7E94414A
	v_exp_f32_e32 v75, v75                                     // 000000009430: 7E96414B
	v_mfma_f32_16x16x16_bf16 v[96:99], v[116:117], a[88:89], 0 // 000000009434: D3E10060 1202B174
	v_perm_b32 v164, v53, v52, s64                             // 00000000943C: D1ED00A4 01026935
	v_perm_b32 v165, v55, v54, s64                             // 000000009444: D1ED00A5 01026D37
	v_perm_b32 v166, v57, v56, s64                             // 00000000944C: D1ED00A6 01027139
	v_perm_b32 v167, v59, v58, s64                             // 000000009454: D1ED00A7 0102753B
	v_perm_b32 v168, v61, v60, s64                             // 00000000945C: D1ED00A8 0102793D
	v_perm_b32 v169, v63, v62, s64                             // 000000009464: D1ED00A9 01027D3F
	v_mfma_f32_16x16x16_bf16 v[96:99], v[118:119], a[90:91], v[96:99]// 00000000946C: D3E10060 1582B576
	v_perm_b32 v170, v65, v64, s64                             // 000000009474: D1ED00AA 01028141
	v_perm_b32 v171, v67, v66, s64                             // 00000000947C: D1ED00AB 01028543
	v_perm_b32 v172, v69, v68, s64                             // 000000009484: D1ED00AC 01028945
	v_perm_b32 v173, v71, v70, s64                             // 00000000948C: D1ED00AD 01028D47
	v_perm_b32 v174, v73, v72, s64                             // 000000009494: D1ED00AE 01029149
	v_perm_b32 v175, v75, v74, s64                             // 00000000949C: D1ED00AF 0102954B
	v_mfma_f32_16x16x16_bf16 v[96:99], v[120:121], a[92:93], v[96:99]// 0000000094A4: D3E10060 1582B978
	v_add_u32_e32 v6, s66, v6                                  // 0000000094AC: 680C0C42
	v_add_u32_e32 v7, s66, v7                                  // 0000000094B0: 680E0E42
	v_add_u32_e32 v8, s66, v8                                  // 0000000094B4: 68101042
	v_add_u32_e32 v9, s66, v9                                  // 0000000094B8: 68121242
	v_mfma_f32_16x16x16_bf16 v[96:99], v[122:123], a[94:95], v[96:99]// 0000000094BC: D3E10060 1582BD7A
	s_waitcnt lgkmcnt(0)                                       // 0000000094C4: BF8CC07F
	s_barrier                                                  // 0000000094C8: BF8A0000
	v_mfma_f32_16x16x16_bf16 v[180:183], v[124:125], v[164:165], v[180:183]// 0000000094CC: D3E100B4 06D3497C
	v_subrev_f32_dpp v76, v176, v76 quad_perm:[0,0,0,0] row_mask:0xf bank_mask:0xf// 0000000094D4: 069898FA FF0000B0
	v_subrev_f32_dpp v77, v176, v77 quad_perm:[1,1,1,1] row_mask:0xf bank_mask:0xf// 0000000094DC: 069A9AFA FF0055B0
	v_subrev_f32_dpp v78, v176, v78 quad_perm:[2,2,2,2] row_mask:0xf bank_mask:0xf// 0000000094E4: 069C9CFA FF00AAB0
	v_subrev_f32_dpp v79, v176, v79 quad_perm:[3,3,3,3] row_mask:0xf bank_mask:0xf// 0000000094EC: 069E9EFA FF00FFB0
	v_subrev_f32_dpp v80, v176, v80 quad_perm:[0,0,0,0] row_mask:0xf bank_mask:0xf// 0000000094F4: 06A0A0FA FF0000B0
	v_subrev_f32_dpp v81, v176, v81 quad_perm:[1,1,1,1] row_mask:0xf bank_mask:0xf// 0000000094FC: 06A2A2FA FF0055B0
	v_mfma_f32_16x16x16_bf16 v[184:187], v[126:127], v[164:165], v[184:187]// 000000009504: D3E100B8 06E3497E
	v_subrev_f32_dpp v82, v176, v82 quad_perm:[2,2,2,2] row_mask:0xf bank_mask:0xf// 00000000950C: 06A4A4FA FF00AAB0
	v_subrev_f32_dpp v83, v176, v83 quad_perm:[3,3,3,3] row_mask:0xf bank_mask:0xf// 000000009514: 06A6A6FA FF00FFB0
	v_subrev_f32_dpp v84, v176, v84 quad_perm:[0,0,0,0] row_mask:0xf bank_mask:0xf// 00000000951C: 06A8A8FA FF0000B0
	v_subrev_f32_dpp v85, v176, v85 quad_perm:[1,1,1,1] row_mask:0xf bank_mask:0xf// 000000009524: 06AAAAFA FF0055B0
	v_subrev_f32_dpp v86, v176, v86 quad_perm:[2,2,2,2] row_mask:0xf bank_mask:0xf// 00000000952C: 06ACACFA FF00AAB0
	v_subrev_f32_dpp v87, v176, v87 quad_perm:[3,3,3,3] row_mask:0xf bank_mask:0xf// 000000009534: 06AEAEFA FF00FFB0
	v_mfma_f32_16x16x16_bf16 v[188:191], v[128:129], v[164:165], v[188:191]// 00000000953C: D3E100BC 06F34980
	v_mul_f32_e32 v76, v52, v76                                // 000000009544: 0A989934
	v_mul_f32_e32 v77, v53, v77                                // 000000009548: 0A9A9B35
	v_mul_f32_e32 v78, v54, v78                                // 00000000954C: 0A9C9D36
	v_mul_f32_e32 v79, v55, v79                                // 000000009550: 0A9E9F37
	v_mul_f32_e32 v80, v56, v80                                // 000000009554: 0AA0A138
	v_mul_f32_e32 v81, v57, v81                                // 000000009558: 0AA2A339
	v_mfma_f32_16x16x16_bf16 v[192:195], v[130:131], v[164:165], v[192:195]// 00000000955C: D3E100C0 07034982
	v_mul_f32_e32 v82, v58, v82                                // 000000009564: 0AA4A53A
	v_mul_f32_e32 v83, v59, v83                                // 000000009568: 0AA6A73B
	v_mul_f32_e32 v84, v60, v84                                // 00000000956C: 0AA8A93C
	v_mul_f32_e32 v85, v61, v85                                // 000000009570: 0AAAAB3D
	v_mul_f32_e32 v86, v62, v86                                // 000000009574: 0AACAD3E
	v_mul_f32_e32 v87, v63, v87                                // 000000009578: 0AAEAF3F
	v_mfma_f32_16x16x16_bf16 v[196:199], v[124:125], v[166:167], v[196:199]// 00000000957C: D3E100C4 07134D7C
	v_perm_b32 v76, v77, v76, s64                              // 000000009584: D1ED004C 0102994D
	v_perm_b32 v77, v79, v78, s64                              // 00000000958C: D1ED004D 01029D4F
	v_perm_b32 v78, v81, v80, s64                              // 000000009594: D1ED004E 0102A151
	v_perm_b32 v79, v83, v82, s64                              // 00000000959C: D1ED004F 0102A553
	v_perm_b32 v80, v85, v84, s64                              // 0000000095A4: D1ED0050 0102A955
	v_perm_b32 v81, v87, v86, s64                              // 0000000095AC: D1ED0051 0102AD57
	v_mfma_f32_16x16x16_bf16 v[200:203], v[126:127], v[166:167], v[200:203]// 0000000095B4: D3E100C8 07234D7E
	v_mov_b32_dpp v18, v76 quad_perm:[1,0,3,2] row_mask:0xf bank_mask:0xf// 0000000095BC: 7E2402FA FF00B14C
	v_perm_b32 v52, v18, v76, v17                              // 0000000095C4: D1ED0034 04469912
	v_mov_b32_dpp v18, v77 quad_perm:[1,0,3,2] row_mask:0xf bank_mask:0xf// 0000000095CC: 7E2402FA FF00B14D
	v_perm_b32 v53, v18, v77, v17                              // 0000000095D4: D1ED0035 04469B12
	v_mov_b32_dpp v18, v78 quad_perm:[1,0,3,2] row_mask:0xf bank_mask:0xf// 0000000095DC: 7E2402FA FF00B14E
	v_perm_b32 v54, v18, v78, v17                              // 0000000095E4: D1ED0036 04469D12
	v_mfma_f32_16x16x16_bf16 v[204:207], v[128:129], v[166:167], v[204:207]// 0000000095EC: D3E100CC 07334D80
	ds_write_b32 v20, v52 offset:17408                         // 0000000095F4: D81A4400 00003414
	ds_write_b32 v20, v53 offset:17952                         // 0000000095FC: D81A4620 00003514
	v_mfma_f32_16x16x16_bf16 v[208:211], v[130:131], v[166:167], v[208:211]// 000000009604: D3E100D0 07434D82
	v_mov_b32_dpp v18, v79 quad_perm:[1,0,3,2] row_mask:0xf bank_mask:0xf// 00000000960C: 7E2402FA FF00B14F
	v_perm_b32 v55, v18, v79, v17                              // 000000009614: D1ED0037 04469F12
	v_mov_b32_dpp v18, v80 quad_perm:[1,0,3,2] row_mask:0xf bank_mask:0xf// 00000000961C: 7E2402FA FF00B150
	v_perm_b32 v56, v18, v80, v17                              // 000000009624: D1ED0038 0446A112
	v_mov_b32_dpp v18, v81 quad_perm:[1,0,3,2] row_mask:0xf bank_mask:0xf// 00000000962C: 7E2402FA FF00B151
	v_perm_b32 v57, v18, v81, v17                              // 000000009634: D1ED0039 0446A312
	v_mfma_f32_16x16x16_bf16 v[212:215], v[124:125], v[168:169], v[212:215]// 00000000963C: D3E100D4 0753517C
	ds_write_b32 v20, v54 offset:19712                         // 000000009644: D81A4D00 00003614
	ds_write_b32 v20, v55 offset:20256                         // 00000000964C: D81A4F20 00003714
	v_mfma_f32_16x16x16_bf16 v[216:219], v[126:127], v[168:169], v[216:219]// 000000009654: D3E100D8 0763517E
	v_subrev_f32_dpp v88, v177, v88 quad_perm:[0,0,0,0] row_mask:0xf bank_mask:0xf// 00000000965C: 06B0B0FA FF0000B1
	v_subrev_f32_dpp v89, v177, v89 quad_perm:[1,1,1,1] row_mask:0xf bank_mask:0xf// 000000009664: 06B2B2FA FF0055B1
	v_subrev_f32_dpp v90, v177, v90 quad_perm:[2,2,2,2] row_mask:0xf bank_mask:0xf// 00000000966C: 06B4B4FA FF00AAB1
	v_subrev_f32_dpp v91, v177, v91 quad_perm:[3,3,3,3] row_mask:0xf bank_mask:0xf// 000000009674: 06B6B6FA FF00FFB1
	v_subrev_f32_dpp v92, v177, v92 quad_perm:[0,0,0,0] row_mask:0xf bank_mask:0xf// 00000000967C: 06B8B8FA FF0000B1
	v_subrev_f32_dpp v93, v177, v93 quad_perm:[1,1,1,1] row_mask:0xf bank_mask:0xf// 000000009684: 06BABAFA FF0055B1
	v_mfma_f32_16x16x16_bf16 v[220:223], v[128:129], v[168:169], v[220:223]// 00000000968C: D3E100DC 07735180
	ds_write_b32 v20, v56 offset:22016                         // 000000009694: D81A5600 00003814
	ds_write_b32 v20, v57 offset:22560                         // 00000000969C: D81A5820 00003914
	v_mfma_f32_16x16x16_bf16 v[224:227], v[130:131], v[168:169], v[224:227]// 0000000096A4: D3E100E0 07835182
	v_subrev_f32_dpp v94, v177, v94 quad_perm:[2,2,2,2] row_mask:0xf bank_mask:0xf// 0000000096AC: 06BCBCFA FF00AAB1
	v_subrev_f32_dpp v95, v177, v95 quad_perm:[3,3,3,3] row_mask:0xf bank_mask:0xf// 0000000096B4: 06BEBEFA FF00FFB1
	v_subrev_f32_dpp v96, v177, v96 quad_perm:[0,0,0,0] row_mask:0xf bank_mask:0xf// 0000000096BC: 06C0C0FA FF0000B1
	v_subrev_f32_dpp v97, v177, v97 quad_perm:[1,1,1,1] row_mask:0xf bank_mask:0xf// 0000000096C4: 06C2C2FA FF0055B1
	v_subrev_f32_dpp v98, v177, v98 quad_perm:[2,2,2,2] row_mask:0xf bank_mask:0xf// 0000000096CC: 06C4C4FA FF00AAB1
	v_subrev_f32_dpp v99, v177, v99 quad_perm:[3,3,3,3] row_mask:0xf bank_mask:0xf// 0000000096D4: 06C6C6FA FF00FFB1
	v_mfma_f32_16x16x16_bf16 v[180:183], v[132:133], v[170:171], v[180:183]// 0000000096DC: D3E100B4 06D35584
	v_mul_f32_e32 v88, v64, v88                                // 0000000096E4: 0AB0B140
	v_mul_f32_e32 v89, v65, v89                                // 0000000096E8: 0AB2B341
	v_mul_f32_e32 v90, v66, v90                                // 0000000096EC: 0AB4B542
	v_mul_f32_e32 v91, v67, v91                                // 0000000096F0: 0AB6B743
	v_mul_f32_e32 v92, v68, v92                                // 0000000096F4: 0AB8B944
	v_mul_f32_e32 v93, v69, v93                                // 0000000096F8: 0ABABB45
	v_mfma_f32_16x16x16_bf16 v[184:187], v[134:135], v[170:171], v[184:187]// 0000000096FC: D3E100B8 06E35586
	v_mul_f32_e32 v94, v70, v94                                // 000000009704: 0ABCBD46
	v_mul_f32_e32 v95, v71, v95                                // 000000009708: 0ABEBF47
	v_mul_f32_e32 v96, v72, v96                                // 00000000970C: 0AC0C148
	v_mul_f32_e32 v97, v73, v97                                // 000000009710: 0AC2C349
	v_mul_f32_e32 v98, v74, v98                                // 000000009714: 0AC4C54A
	v_mul_f32_e32 v99, v75, v99                                // 000000009718: 0AC6C74B
	v_mfma_f32_16x16x16_bf16 v[188:191], v[136:137], v[170:171], v[188:191]// 00000000971C: D3E100BC 06F35588
	v_perm_b32 v82, v89, v88, s64                              // 000000009724: D1ED0052 0102B159
	v_perm_b32 v83, v91, v90, s64                              // 00000000972C: D1ED0053 0102B55B
	v_perm_b32 v84, v93, v92, s64                              // 000000009734: D1ED0054 0102B95D
	v_perm_b32 v85, v95, v94, s64                              // 00000000973C: D1ED0055 0102BD5F
	v_perm_b32 v86, v97, v96, s64                              // 000000009744: D1ED0056 0102C161
	v_perm_b32 v87, v99, v98, s64                              // 00000000974C: D1ED0057 0102C563
	v_mfma_f32_16x16x16_bf16 v[192:195], v[138:139], v[170:171], v[192:195]// 000000009754: D3E100C0 0703558A
	v_mov_b32_dpp v18, v82 quad_perm:[1,0,3,2] row_mask:0xf bank_mask:0xf// 00000000975C: 7E2402FA FF00B152
	v_perm_b32 v58, v18, v82, v17                              // 000000009764: D1ED003A 0446A512
	v_mov_b32_dpp v18, v83 quad_perm:[1,0,3,2] row_mask:0xf bank_mask:0xf// 00000000976C: 7E2402FA FF00B153
	v_perm_b32 v59, v18, v83, v17                              // 000000009774: D1ED003B 0446A712
	v_mov_b32_dpp v18, v84 quad_perm:[1,0,3,2] row_mask:0xf bank_mask:0xf// 00000000977C: 7E2402FA FF00B154
	v_perm_b32 v60, v18, v84, v17                              // 000000009784: D1ED003C 0446A912
	v_mfma_f32_16x16x16_bf16 v[196:199], v[132:133], v[172:173], v[196:199]// 00000000978C: D3E100C4 07135984
	ds_write_b32 v20, v58 offset:24320                         // 000000009794: D81A5F00 00003A14
	ds_write_b32 v20, v59 offset:24864                         // 00000000979C: D81A6120 00003B14
	v_mfma_f32_16x16x16_bf16 v[200:203], v[134:135], v[172:173], v[200:203]// 0000000097A4: D3E100C8 07235986
	v_mov_b32_dpp v18, v85 quad_perm:[1,0,3,2] row_mask:0xf bank_mask:0xf// 0000000097AC: 7E2402FA FF00B155
	v_perm_b32 v61, v18, v85, v17                              // 0000000097B4: D1ED003D 0446AB12
	v_mov_b32_dpp v18, v86 quad_perm:[1,0,3,2] row_mask:0xf bank_mask:0xf// 0000000097BC: 7E2402FA FF00B156
	v_perm_b32 v62, v18, v86, v17                              // 0000000097C4: D1ED003E 0446AD12
	v_mov_b32_dpp v18, v87 quad_perm:[1,0,3,2] row_mask:0xf bank_mask:0xf// 0000000097CC: 7E2402FA FF00B157
	v_perm_b32 v63, v18, v87, v17                              // 0000000097D4: D1ED003F 0446AF12
	v_mfma_f32_16x16x16_bf16 v[204:207], v[136:137], v[172:173], v[204:207]// 0000000097DC: D3E100CC 07335988
	ds_write_b32 v20, v60 offset:26624                         // 0000000097E4: D81A6800 00003C14
	ds_write_b32 v20, v61 offset:27168                         // 0000000097EC: D81A6A20 00003D14
	ds_write_b32 v20, v62 offset:28928                         // 0000000097F4: D81A7100 00003E14
	ds_write_b32 v20, v63 offset:29472                         // 0000000097FC: D81A7320 00003F14
	v_mfma_f32_16x16x16_bf16 v[208:211], v[138:139], v[172:173], v[208:211]// 000000009804: D3E100D0 0743598A
	v_mfma_f32_16x16x16_bf16 v[212:215], v[132:133], v[174:175], v[212:215]// 00000000980C: D3E100D4 07535D84
	ds_write_b32 v15, v100 offset:4352                         // 000000009814: D81A1100 0000640F
	ds_write_b32 v15, v101 offset:5408                         // 00000000981C: D81A1520 0000650F
	v_mfma_f32_16x16x16_bf16 v[216:219], v[134:135], v[174:175], v[216:219]// 000000009824: D3E100D8 07635D86
	v_mfma_f32_16x16x16_bf16 v[220:223], v[136:137], v[174:175], v[220:223]// 00000000982C: D3E100DC 07735D88
	ds_write_b32 v15, v102 offset:6528                         // 000000009834: D81A1980 0000660F
	ds_write_b32 v15, v103 offset:7584                         // 00000000983C: D81A1DA0 0000670F
	v_mfma_f32_16x16x16_bf16 v[224:227], v[138:139], v[174:175], v[224:227]// 000000009844: D3E100E0 07835D8A
	s_nop 0                                                    // 00000000984C: BF800000
	s_nop 0                                                    // 000000009850: BF800000
	s_nop 0                                                    // 000000009854: BF800000
	s_barrier                                                  // 000000009858: BF8A0000
	v_mfma_f32_16x16x16_bf16 a[112:115], a[96:97], v[76:77], a[112:115]// 00000000985C: D3E18070 0DC29960
	ds_read_b32 v140, v23 offset:39424                         // 000000009864: D86C9A00 8C000017
	ds_read_b32 v144, v23 offset:39488                         // 00000000986C: D86C9A40 90000017
	ds_read_b32 v176, v23 offset:39680                         // 000000009874: D86C9B00 B0000017
	ds_read_b32 v177, v23 offset:39744                         // 00000000987C: D86C9B40 B1000017
	v_mfma_f32_16x16x16_bf16 a[116:119], a[98:99], v[76:77], a[116:119]// 000000009884: D3E18074 0DD29962
	buffer_atomic_add_f32 v156, v6, s[32:35], 0 idxen          // 00000000988C: E1342000 80089C06
	v_mfma_f32_16x16x16_bf16 a[120:123], a[100:101], v[76:77], a[120:123]// 000000009894: D3E18078 0DE29964
	s_waitcnt lgkmcnt(8)                                       // 00000000989C: BF8CC87F
	s_barrier                                                  // 0000000098A0: BF8A0000
	v_mfma_f32_16x16x16_bf16 a[124:127], a[102:103], v[76:77], a[124:127]// 0000000098A4: D3E1807C 0DF29966
	v_mfma_f32_16x16x16_bf16 a[128:131], a[96:97], v[78:79], a[128:131]// 0000000098AC: D3E18080 0E029D60
	ds_read_b128 v[52:55], v19 offset:17408                    // 0000000098B4: D9FE4400 34000013
	v_mfma_f32_16x16x16_bf16 a[132:135], a[98:99], v[78:79], a[132:135]// 0000000098BC: D3E18084 0E129D62
	v_mfma_f32_16x16x16_bf16 a[136:139], a[100:101], v[78:79], a[136:139]// 0000000098C4: D3E18088 0E229D64
	ds_read_b128 v[56:59], v19 offset:18560                    // 0000000098CC: D9FE4880 38000013
	v_mfma_f32_16x16x16_bf16 a[140:143], a[102:103], v[78:79], a[140:143]// 0000000098D4: D3E1808C 0E329D66
	buffer_atomic_add_f32 v157, v7, s[32:35], 0 idxen          // 0000000098DC: E1342000 80089D07
	v_mfma_f32_16x16x16_bf16 a[144:147], a[96:97], v[80:81], a[144:147]// 0000000098E4: D3E18090 0E42A160
	ds_read_b128 v[60:63], v19 offset:19712                    // 0000000098EC: D9FE4D00 3C000013
	v_mfma_f32_16x16x16_bf16 a[148:151], a[98:99], v[80:81], a[148:151]// 0000000098F4: D3E18094 0E52A162
	v_mfma_f32_16x16x16_bf16 a[152:155], a[100:101], v[80:81], a[152:155]// 0000000098FC: D3E18098 0E62A164
	ds_read_b128 v[64:67], v19 offset:20864                    // 000000009904: D9FE5180 40000013
	v_mfma_f32_16x16x16_bf16 a[156:159], a[102:103], v[80:81], a[156:159]// 00000000990C: D3E1809C 0E72A166
	v_mfma_f32_16x16x16_bf16 a[112:115], a[104:105], v[82:83], a[112:115]// 000000009914: D3E18070 0DC2A568
	ds_read_b128 v[68:71], v19 offset:22016                    // 00000000991C: D9FE5600 44000013
	v_mfma_f32_16x16x16_bf16 a[116:119], a[106:107], v[82:83], a[116:119]// 000000009924: D3E18074 0DD2A56A
	buffer_atomic_add_f32 v158, v6, s[32:35], 0 idxen offset:128// 00000000992C: E1342080 80089E06
	v_mfma_f32_16x16x16_bf16 a[120:123], a[108:109], v[82:83], a[120:123]// 000000009934: D3E18078 0DE2A56C
	ds_read_b128 v[72:75], v19 offset:23168                    // 00000000993C: D9FE5A80 48000013
	v_mfma_f32_16x16x16_bf16 a[124:127], a[110:111], v[82:83], a[124:127]// 000000009944: D3E1807C 0DF2A56E
	v_mfma_f32_16x16x16_bf16 a[128:131], a[104:105], v[84:85], a[128:131]// 00000000994C: D3E18080 0E02A968
	ds_write_b32 v15, v104 offset:13056                        // 000000009954: D81A3300 0000680F
	v_mfma_f32_16x16x16_bf16 a[132:135], a[106:107], v[84:85], a[132:135]// 00000000995C: D3E18084 0E12A96A
	v_mfma_f32_16x16x16_bf16 a[136:139], a[108:109], v[84:85], a[136:139]// 000000009964: D3E18088 0E22A96C
	ds_write_b32 v15, v105 offset:14112                        // 00000000996C: D81A3720 0000690F
	v_mfma_f32_16x16x16_bf16 a[140:143], a[110:111], v[84:85], a[140:143]// 000000009974: D3E1808C 0E32A96E
	buffer_atomic_add_f32 v159, v7, s[32:35], 0 idxen offset:128// 00000000997C: E1342080 80089F07
	v_mfma_f32_16x16x16_bf16 a[144:147], a[104:105], v[86:87], a[144:147]// 000000009984: D3E18090 0E42AD68
	ds_write_b32 v15, v106 offset:15232                        // 00000000998C: D81A3B80 00006A0F
	v_mfma_f32_16x16x16_bf16 a[148:151], a[106:107], v[86:87], a[148:151]// 000000009994: D3E18094 0E52AD6A
	v_mfma_f32_16x16x16_bf16 a[152:155], a[108:109], v[86:87], a[152:155]// 00000000999C: D3E18098 0E62AD6C
	ds_write_b32 v15, v107 offset:16288                        // 0000000099A4: D81A3FA0 00006B0F
	v_mfma_f32_16x16x16_bf16 a[156:159], a[110:111], v[86:87], a[156:159]// 0000000099AC: D3E1809C 0E72AD6E
	s_waitcnt vmcnt(8) lgkmcnt(4)                              // 0000000099B4: BF8C0478
	s_barrier                                                  // 0000000099B8: BF8A0000
	v_mfma_f32_16x16x16_bf16 v[148:151], v[52:53], a[24:25], 0 // 0000000099BC: D3E10094 12023134
	ds_read_b128 a[96:99], v12                                 // 0000000099C4: DBFE0000 6000000C
	buffer_load_dword v36, v1, s[8:11], 0 idxen                // 0000000099CC: E0502000 80022401
	v_mfma_f32_16x16x16_bf16 v[148:151], v[54:55], a[28:29], v[148:151]// 0000000099D4: D3E10094 16523936
	v_mul_f32_e32 v140, s48, v140                              // 0000000099DC: 0B191830
	v_mul_f32_e32 v144, s48, v144                              // 0000000099E0: 0B212030
	s_nop 0                                                    // 0000000099E4: BF800000
	v_mfma_f32_16x16x16_bf16 v[148:151], v[56:57], a[32:33], v[148:151]// 0000000099E8: D3E10094 16524138
	ds_read_b128 a[100:103], v12 offset:512                    // 0000000099F0: DBFE0200 6400000C
	buffer_load_dword v37, v2, s[8:11], 0 idxen                // 0000000099F8: E0502000 80022502
	v_mfma_f32_16x16x16_bf16 v[148:151], v[58:59], a[36:37], v[148:151]// 000000009A00: D3E10094 1652493A
	v_mfma_f32_16x16x16_bf16 v[148:151], v[60:61], a[40:41], v[148:151]// 000000009A08: D3E10094 1652513C
	ds_read_b128 a[104:107], v12 offset:2176                   // 000000009A10: DBFE0880 6800000C
	buffer_load_dword v38, v3, s[8:11], 0 idxen                // 000000009A18: E0502000 80022603
	v_mfma_f32_16x16x16_bf16 v[148:151], v[62:63], a[44:45], v[148:151]// 000000009A20: D3E10094 1652593E
	v_perm_b32 v100, v41, v40, s63                             // 000000009A28: D1ED0064 00FE5129
	v_perm_b32 v101, v41, v40, s64                             // 000000009A30: D1ED0065 01025129
	v_mfma_f32_16x16x16_bf16 v[148:151], v[64:65], a[48:49], v[148:151]// 000000009A38: D3E10094 16526140
	ds_read_b128 a[108:111], v12 offset:2688                   // 000000009A40: DBFE0A80 6C00000C
	buffer_load_dword v39, v4, s[8:11], 0 idxen                // 000000009A48: E0502000 80022704
	v_mfma_f32_16x16x16_bf16 v[148:151], v[66:67], a[52:53], v[148:151]// 000000009A50: D3E10094 16526942
	v_perm_b32 v102, v43, v42, s63                             // 000000009A58: D1ED0066 00FE552B
	v_perm_b32 v103, v43, v42, s64                             // 000000009A60: D1ED0067 0102552B
	v_mfma_f32_16x16x16_bf16 v[148:151], v[68:69], a[56:57], v[148:151]// 000000009A68: D3E10094 16527144
	ds_read_b128 v[108:111], v12 offset:8704                   // 000000009A70: D9FE2200 6C00000C
	buffer_load_dword v44, v232, s[20:23], 0 idxen             // 000000009A78: E0502000 80052CE8
	v_mfma_f32_16x16x16_bf16 v[148:151], v[70:71], a[60:61], v[148:151]// 000000009A80: D3E10094 16527946
	v_perm_b32 v104, v49, v48, s63                             // 000000009A88: D1ED0068 00FE6131
	v_perm_b32 v105, v49, v48, s64                             // 000000009A90: D1ED0069 01026131
	v_mfma_f32_16x16x16_bf16 v[148:151], v[72:73], a[64:65], v[148:151]// 000000009A98: D3E10094 16528148
	ds_read_b128 v[112:115], v12 offset:9216                   // 000000009AA0: D9FE2400 7000000C
	buffer_load_dword v45, v233, s[20:23], 0 idxen             // 000000009AA8: E0502000 80052DE9
	v_mfma_f32_16x16x16_bf16 v[148:151], v[74:75], a[68:69], v[148:151]// 000000009AB0: D3E10094 1652894A
	v_perm_b32 v106, v51, v50, s63                             // 000000009AB8: D1ED006A 00FE6533
	v_perm_b32 v107, v51, v50, s64                             // 000000009AC0: D1ED006B 01026533
	v_mfma_f32_16x16x16_bf16 v[152:155], v[52:53], a[26:27], 0 // 000000009AC8: D3E10098 12023534
	ds_read_b128 v[116:119], v12 offset:10880                  // 000000009AD0: D9FE2A80 7400000C
	buffer_load_dword v46, v234, s[20:23], 0 idxen             // 000000009AD8: E0502000 80052EEA
	v_mfma_f32_16x16x16_bf16 v[152:155], v[54:55], a[30:31], v[152:155]// 000000009AE0: D3E10098 16623D36
	v_mov_b32_dpp v143, v140 quad_perm:[3,3,3,3] row_mask:0xf bank_mask:0xf// 000000009AE8: 7F1E02FA FF00FF8C
	v_mov_b32_dpp v142, v140 quad_perm:[2,2,2,2] row_mask:0xf bank_mask:0xf// 000000009AF0: 7F1C02FA FF00AA8C
	v_mov_b32_dpp v141, v140 quad_perm:[1,1,1,1] row_mask:0xf bank_mask:0xf// 000000009AF8: 7F1A02FA FF00558C
	v_mov_b32_dpp v140, v140 quad_perm:[0,0,0,0] row_mask:0xf bank_mask:0xf// 000000009B00: 7F1802FA FF00008C
	v_mfma_f32_16x16x16_bf16 v[152:155], v[56:57], a[34:35], v[152:155]// 000000009B08: D3E10098 16624538
	ds_read_b128 v[120:123], v12 offset:11392                  // 000000009B10: D9FE2C80 7800000C
	buffer_load_dword v47, v235, s[20:23], 0 idxen             // 000000009B18: E0502000 80052FEB
	v_mfma_f32_16x16x16_bf16 v[152:155], v[58:59], a[38:39], v[152:155]// 000000009B20: D3E10098 16624D3A
	v_mov_b32_dpp v147, v144 quad_perm:[3,3,3,3] row_mask:0xf bank_mask:0xf// 000000009B28: 7F2602FA FF00FF90
	v_mov_b32_dpp v146, v144 quad_perm:[2,2,2,2] row_mask:0xf bank_mask:0xf// 000000009B30: 7F2402FA FF00AA90
	v_mov_b32_dpp v145, v144 quad_perm:[1,1,1,1] row_mask:0xf bank_mask:0xf// 000000009B38: 7F2202FA FF005590
	v_mov_b32_dpp v144, v144 quad_perm:[0,0,0,0] row_mask:0xf bank_mask:0xf// 000000009B40: 7F2002FA FF000090
	s_add_u32 s60, 0x80, s59                                   // 000000009B48: 803C3BFF 00000080
	v_mfma_f32_16x16x16_bf16 v[152:155], v[60:61], a[42:43], v[152:155]// 000000009B50: D3E10098 1662553C
	buffer_load_dword v11, s[24:27], 0 idxen lds               // 000000009B58: E0512000 8006000B
	v_mfma_f32_16x16x16_bf16 v[152:155], v[62:63], a[46:47], v[152:155]// 000000009B60: D3E10098 16625D3E
	s_cmp_lt_u32 s60, s58                                      // 000000009B68: BF0A3A3C
	s_cselect_b32 s68, s68, 0                                  // 000000009B6C: 85448044
	s_cselect_b32 s99, s99, 0                                  // 000000009B70: 85638063
	s_cselect_b32 s69, s69, 0                                  // 000000009B74: 85458045
	v_mfma_f32_16x16x16_bf16 v[152:155], v[64:65], a[50:51], v[152:155]// 000000009B78: D3E10098 16626540
	v_add_u32_e32 v1, s68, v1                                  // 000000009B80: 68020244
	v_add_u32_e32 v2, s68, v2                                  // 000000009B84: 68040444
	v_add_u32_e32 v3, s68, v3                                  // 000000009B88: 68060644
	v_add_u32_e32 v4, s68, v4                                  // 000000009B8C: 68080844
	v_mfma_f32_16x16x16_bf16 v[152:155], v[66:67], a[54:55], v[152:155]// 000000009B90: D3E10098 16626D42
	v_add_u32_e32 v232, s99, v232                              // 000000009B98: 69D1D063
	v_add_u32_e32 v233, s99, v233                              // 000000009B9C: 69D3D263
	v_add_u32_e32 v234, s99, v234                              // 000000009BA0: 69D5D463
	v_add_u32_e32 v235, s99, v235                              // 000000009BA4: 69D7D663
	v_mfma_f32_16x16x16_bf16 v[152:155], v[68:69], a[58:59], v[152:155]// 000000009BA8: D3E10098 16627544
	s_mov_b32 m0, s81                                          // 000000009BB0: BEFC0051
	v_add_u32_e32 v11, s69, v11                                // 000000009BB4: 68161645
	v_mfma_f32_16x16x16_bf16 v[152:155], v[70:71], a[62:63], v[152:155]// 000000009BB8: D3E10098 16627D46
	s_cmp_ge_u32 s59, s73                                      // 000000009BC0: BF09493B
	s_cselect_b32 s66, s67, s66                                // 000000009BC4: 85424243
	v_mfma_f32_16x16x16_bf16 v[152:155], v[72:73], a[66:67], v[152:155]// 000000009BC8: D3E10098 16628548
	s_addk_i32 s59, 0x20                                       // 000000009BD0: B73B0020
	s_nop 0                                                    // 000000009BD4: BF800000
	s_cmp_lt_i32 s59, s58                                      // 000000009BD8: BF043A3B
	v_mfma_f32_16x16x16_bf16 v[152:155], v[74:75], a[70:71], v[152:155]// 000000009BDC: D3E10098 16628D4A
	s_cbranch_scc0 label_0EB5                                  // 000000009BE4: BF84F7A9
	s_branch label_0EB8                                        // 000000009BE8: BF82F7AB

0000000000009bec <label_171F>:
	buffer_atomic_add_f32 v160, v8, s[32:35], 0 idxen          // 000000009BEC: E1342000 8008A008
	buffer_atomic_add_f32 v161, v9, s[32:35], 0 idxen          // 000000009BF4: E1342000 8008A109
	buffer_atomic_add_f32 v162, v8, s[32:35], 0 idxen offset:128// 000000009BFC: E1342080 8008A208
	buffer_atomic_add_f32 v163, v9, s[32:35], 0 idxen offset:128// 000000009C04: E1342080 8008A309
	v_add_u32_e32 v6, s66, v6                                  // 000000009C0C: 680C0C42
	v_add_u32_e32 v7, s66, v7                                  // 000000009C10: 680E0E42
	v_add_u32_e32 v8, s66, v8                                  // 000000009C14: 68101042
	v_add_u32_e32 v9, s66, v9                                  // 000000009C18: 68121242
	v_lshrrev_b32_e32 v32, 5, v0                               // 000000009C1C: 20400085
	v_mul_i32_i24_e32 v27, 0x44, v32                           // 000000009C20: 0C3640FF 00000044
	v_and_b32_e32 v32, 31, v0                                  // 000000009C28: 2640009F
	v_mul_i32_i24_e32 v33, 2, v32                              // 000000009C2C: 0C424082
	v_add_u32_e32 v27, v33, v27                                // 000000009C30: 68363721
	s_mul_i32 s60, s46, 0x220                                  // 000000009C34: 923CFF2E 00000220
	v_add_u32_e32 v27, s60, v27                                // 000000009C3C: 6836363C
	v_lshlrev_b32_e32 v27, 2, v27                              // 000000009C40: 24363682
	v_mul_f32_e32 v148, s47, v148                              // 000000009C44: 0B29282F
	v_mul_f32_e32 v149, s47, v149                              // 000000009C48: 0B2B2A2F
	v_mul_f32_e32 v150, s47, v150                              // 000000009C4C: 0B2D2C2F
	v_mul_f32_e32 v151, s47, v151                              // 000000009C50: 0B2F2E2F
	v_mul_f32_e32 v152, s47, v152                              // 000000009C54: 0B31302F
	v_mul_f32_e32 v153, s47, v153                              // 000000009C58: 0B33322F
	v_mul_f32_e32 v154, s47, v154                              // 000000009C5C: 0B35342F
	v_mul_f32_e32 v155, s47, v155                              // 000000009C60: 0B37362F
	ds_write_b64 v22, v[148:149] offset:31232                  // 000000009C64: D89A7A00 00009416
	ds_write_b64 v22, v[150:151] offset:31744                  // 000000009C6C: D89A7C00 00009616
	ds_write_b64 v22, v[152:153] offset:32256                  // 000000009C74: D89A7E00 00009816
	ds_write_b64 v22, v[154:155] offset:32768                  // 000000009C7C: D89A8000 00009A16
	s_waitcnt lgkmcnt(0)                                       // 000000009C84: BF8CC07F
	s_barrier                                                  // 000000009C88: BF8A0000
	ds_read_b64 v[156:157], v21 offset:31232                   // 000000009C8C: D8EC7A00 9C000015
	ds_read_b64 v[158:159], v21 offset:33280                   // 000000009C94: D8EC8200 9E000015
	ds_read_b64 v[160:161], v21 offset:35328                   // 000000009C9C: D8EC8A00 A0000015
	ds_read_b64 v[162:163], v21 offset:37376                   // 000000009CA4: D8EC9200 A2000015
	s_waitcnt lgkmcnt(0)                                       // 000000009CAC: BF8CC07F
	s_barrier                                                  // 000000009CB0: BF8A0000
	buffer_atomic_add_f32 v156, v6, s[32:35], 0 idxen          // 000000009CB4: E1342000 80089C06
	buffer_atomic_add_f32 v157, v7, s[32:35], 0 idxen          // 000000009CBC: E1342000 80089D07
	buffer_atomic_add_f32 v158, v6, s[32:35], 0 idxen offset:128// 000000009CC4: E1342080 80089E06
	buffer_atomic_add_f32 v159, v7, s[32:35], 0 idxen offset:128// 000000009CCC: E1342080 80089F07
	buffer_atomic_add_f32 v160, v8, s[32:35], 0 idxen          // 000000009CD4: E1342000 8008A008
	buffer_atomic_add_f32 v161, v9, s[32:35], 0 idxen          // 000000009CDC: E1342000 8008A109
	buffer_atomic_add_f32 v162, v8, s[32:35], 0 idxen offset:128// 000000009CE4: E1342080 8008A208
	buffer_atomic_add_f32 v163, v9, s[32:35], 0 idxen offset:128// 000000009CEC: E1342080 8008A309
	v_lshrrev_b32_e32 v32, 3, v0                               // 000000009CF4: 20400083
	v_mul_i32_i24_e32 v26, 2, v32                              // 000000009CF8: 0C344082
	v_and_b32_e32 v32, 7, v0                                   // 000000009CFC: 26400087
	v_mul_i32_i24_e32 v33, 0x44, v32                           // 000000009D00: 0C4240FF 00000044
	v_add_u32_e32 v26, v33, v26                                // 000000009D08: 68343521
	s_mul_i32 s60, s46, 0x220                                  // 000000009D0C: 923CFF2E 00000220
	v_add_u32_e32 v26, s60, v26                                // 000000009D14: 6834343C
	v_lshlrev_b32_e32 v26, 2, v26                              // 000000009D18: 24343482
	v_accvgpr_read_b32 v34, a112                               // 000000009D1C: D3D84022 18000170
	v_accvgpr_read_b32 v35, a113                               // 000000009D24: D3D84023 18000171
	v_mul_f32_e32 v34, s47, v34                                // 000000009D2C: 0A44442F
	v_mul_f32_e32 v35, s47, v35                                // 000000009D30: 0A46462F
	v_cmp_u_f32_e64 s[78:79], v34, v34                         // 000000009D34: D048004E 00024522
	v_bfe_u32 v228, v34, 16, 1                                 // 000000009D3C: D1C800E4 02052122
	v_add3_u32 v228, v34, v228, v231                           // 000000009D44: D1FF00E4 079FC922
	v_cndmask_b32_e64 v32, v228, v230, s[78:79]                // 000000009D4C: D1000020 013BCDE4
	v_lshrrev_b32_e32 v32, 16, v32                             // 000000009D54: 20404090
	v_cmp_u_f32_e64 s[78:79], v35, v35                         // 000000009D58: D048004E 00024723
	v_bfe_u32 v228, v35, 16, 1                                 // 000000009D60: D1C800E4 02052123
	v_add3_u32 v228, v35, v228, v231                           // 000000009D68: D1FF00E4 079FC923
	v_cndmask_b32_e64 v33, v228, v230, s[78:79]                // 000000009D70: D1000021 013BCDE4
	v_and_or_b32 v52, v33, v229, v32                           // 000000009D78: D2010034 0483CB21
	v_accvgpr_read_b32 v34, a114                               // 000000009D80: D3D84022 18000172
	v_accvgpr_read_b32 v35, a115                               // 000000009D88: D3D84023 18000173
	v_mul_f32_e32 v34, s47, v34                                // 000000009D90: 0A44442F
	v_mul_f32_e32 v35, s47, v35                                // 000000009D94: 0A46462F
	v_cmp_u_f32_e64 s[78:79], v34, v34                         // 000000009D98: D048004E 00024522
	v_bfe_u32 v228, v34, 16, 1                                 // 000000009DA0: D1C800E4 02052122
	v_add3_u32 v228, v34, v228, v231                           // 000000009DA8: D1FF00E4 079FC922
	v_cndmask_b32_e64 v32, v228, v230, s[78:79]                // 000000009DB0: D1000020 013BCDE4
	v_lshrrev_b32_e32 v32, 16, v32                             // 000000009DB8: 20404090
	v_cmp_u_f32_e64 s[78:79], v35, v35                         // 000000009DBC: D048004E 00024723
	v_bfe_u32 v228, v35, 16, 1                                 // 000000009DC4: D1C800E4 02052123
	v_add3_u32 v228, v35, v228, v231                           // 000000009DCC: D1FF00E4 079FC923
	v_cndmask_b32_e64 v33, v228, v230, s[78:79]                // 000000009DD4: D1000021 013BCDE4
	v_and_or_b32 v53, v33, v229, v32                           // 000000009DDC: D2010035 0483CB21
	v_accvgpr_read_b32 v34, a116                               // 000000009DE4: D3D84022 18000174
	v_accvgpr_read_b32 v35, a117                               // 000000009DEC: D3D84023 18000175
	v_mul_f32_e32 v34, s47, v34                                // 000000009DF4: 0A44442F
	v_mul_f32_e32 v35, s47, v35                                // 000000009DF8: 0A46462F
	v_cmp_u_f32_e64 s[78:79], v34, v34                         // 000000009DFC: D048004E 00024522
	v_bfe_u32 v228, v34, 16, 1                                 // 000000009E04: D1C800E4 02052122
	v_add3_u32 v228, v34, v228, v231                           // 000000009E0C: D1FF00E4 079FC922
	v_cndmask_b32_e64 v32, v228, v230, s[78:79]                // 000000009E14: D1000020 013BCDE4
	v_lshrrev_b32_e32 v32, 16, v32                             // 000000009E1C: 20404090
	v_cmp_u_f32_e64 s[78:79], v35, v35                         // 000000009E20: D048004E 00024723
	v_bfe_u32 v228, v35, 16, 1                                 // 000000009E28: D1C800E4 02052123
	v_add3_u32 v228, v35, v228, v231                           // 000000009E30: D1FF00E4 079FC923
	v_cndmask_b32_e64 v33, v228, v230, s[78:79]                // 000000009E38: D1000021 013BCDE4
	v_and_or_b32 v54, v33, v229, v32                           // 000000009E40: D2010036 0483CB21
	v_accvgpr_read_b32 v34, a118                               // 000000009E48: D3D84022 18000176
	v_accvgpr_read_b32 v35, a119                               // 000000009E50: D3D84023 18000177
	v_mul_f32_e32 v34, s47, v34                                // 000000009E58: 0A44442F
	v_mul_f32_e32 v35, s47, v35                                // 000000009E5C: 0A46462F
	v_cmp_u_f32_e64 s[78:79], v34, v34                         // 000000009E60: D048004E 00024522
	v_bfe_u32 v228, v34, 16, 1                                 // 000000009E68: D1C800E4 02052122
	v_add3_u32 v228, v34, v228, v231                           // 000000009E70: D1FF00E4 079FC922
	v_cndmask_b32_e64 v32, v228, v230, s[78:79]                // 000000009E78: D1000020 013BCDE4
	v_lshrrev_b32_e32 v32, 16, v32                             // 000000009E80: 20404090
	v_cmp_u_f32_e64 s[78:79], v35, v35                         // 000000009E84: D048004E 00024723
	v_bfe_u32 v228, v35, 16, 1                                 // 000000009E8C: D1C800E4 02052123
	v_add3_u32 v228, v35, v228, v231                           // 000000009E94: D1FF00E4 079FC923
	v_cndmask_b32_e64 v33, v228, v230, s[78:79]                // 000000009E9C: D1000021 013BCDE4
	v_and_or_b32 v55, v33, v229, v32                           // 000000009EA4: D2010037 0483CB21
	v_accvgpr_read_b32 v34, a120                               // 000000009EAC: D3D84022 18000178
	v_accvgpr_read_b32 v35, a121                               // 000000009EB4: D3D84023 18000179
	v_mul_f32_e32 v34, s47, v34                                // 000000009EBC: 0A44442F
	v_mul_f32_e32 v35, s47, v35                                // 000000009EC0: 0A46462F
	v_cmp_u_f32_e64 s[78:79], v34, v34                         // 000000009EC4: D048004E 00024522
	v_bfe_u32 v228, v34, 16, 1                                 // 000000009ECC: D1C800E4 02052122
	v_add3_u32 v228, v34, v228, v231                           // 000000009ED4: D1FF00E4 079FC922
	v_cndmask_b32_e64 v32, v228, v230, s[78:79]                // 000000009EDC: D1000020 013BCDE4
	v_lshrrev_b32_e32 v32, 16, v32                             // 000000009EE4: 20404090
	v_cmp_u_f32_e64 s[78:79], v35, v35                         // 000000009EE8: D048004E 00024723
	v_bfe_u32 v228, v35, 16, 1                                 // 000000009EF0: D1C800E4 02052123
	v_add3_u32 v228, v35, v228, v231                           // 000000009EF8: D1FF00E4 079FC923
	v_cndmask_b32_e64 v33, v228, v230, s[78:79]                // 000000009F00: D1000021 013BCDE4
	v_and_or_b32 v56, v33, v229, v32                           // 000000009F08: D2010038 0483CB21
	v_accvgpr_read_b32 v34, a122                               // 000000009F10: D3D84022 1800017A
	v_accvgpr_read_b32 v35, a123                               // 000000009F18: D3D84023 1800017B
	v_mul_f32_e32 v34, s47, v34                                // 000000009F20: 0A44442F
	v_mul_f32_e32 v35, s47, v35                                // 000000009F24: 0A46462F
	v_cmp_u_f32_e64 s[78:79], v34, v34                         // 000000009F28: D048004E 00024522
	v_bfe_u32 v228, v34, 16, 1                                 // 000000009F30: D1C800E4 02052122
	v_add3_u32 v228, v34, v228, v231                           // 000000009F38: D1FF00E4 079FC922
	v_cndmask_b32_e64 v32, v228, v230, s[78:79]                // 000000009F40: D1000020 013BCDE4
	v_lshrrev_b32_e32 v32, 16, v32                             // 000000009F48: 20404090
	v_cmp_u_f32_e64 s[78:79], v35, v35                         // 000000009F4C: D048004E 00024723
	v_bfe_u32 v228, v35, 16, 1                                 // 000000009F54: D1C800E4 02052123
	v_add3_u32 v228, v35, v228, v231                           // 000000009F5C: D1FF00E4 079FC923
	v_cndmask_b32_e64 v33, v228, v230, s[78:79]                // 000000009F64: D1000021 013BCDE4
	v_and_or_b32 v57, v33, v229, v32                           // 000000009F6C: D2010039 0483CB21
	v_accvgpr_read_b32 v34, a124                               // 000000009F74: D3D84022 1800017C
	v_accvgpr_read_b32 v35, a125                               // 000000009F7C: D3D84023 1800017D
	v_mul_f32_e32 v34, s47, v34                                // 000000009F84: 0A44442F
	v_mul_f32_e32 v35, s47, v35                                // 000000009F88: 0A46462F
	v_cmp_u_f32_e64 s[78:79], v34, v34                         // 000000009F8C: D048004E 00024522
	v_bfe_u32 v228, v34, 16, 1                                 // 000000009F94: D1C800E4 02052122
	v_add3_u32 v228, v34, v228, v231                           // 000000009F9C: D1FF00E4 079FC922
	v_cndmask_b32_e64 v32, v228, v230, s[78:79]                // 000000009FA4: D1000020 013BCDE4
	v_lshrrev_b32_e32 v32, 16, v32                             // 000000009FAC: 20404090
	v_cmp_u_f32_e64 s[78:79], v35, v35                         // 000000009FB0: D048004E 00024723
	v_bfe_u32 v228, v35, 16, 1                                 // 000000009FB8: D1C800E4 02052123
	v_add3_u32 v228, v35, v228, v231                           // 000000009FC0: D1FF00E4 079FC923
	v_cndmask_b32_e64 v33, v228, v230, s[78:79]                // 000000009FC8: D1000021 013BCDE4
	v_and_or_b32 v58, v33, v229, v32                           // 000000009FD0: D201003A 0483CB21
	v_accvgpr_read_b32 v34, a126                               // 000000009FD8: D3D84022 1800017E
	v_accvgpr_read_b32 v35, a127                               // 000000009FE0: D3D84023 1800017F
	v_mul_f32_e32 v34, s47, v34                                // 000000009FE8: 0A44442F
	v_mul_f32_e32 v35, s47, v35                                // 000000009FEC: 0A46462F
	v_cmp_u_f32_e64 s[78:79], v34, v34                         // 000000009FF0: D048004E 00024522
	v_bfe_u32 v228, v34, 16, 1                                 // 000000009FF8: D1C800E4 02052122
	v_add3_u32 v228, v34, v228, v231                           // 00000000A000: D1FF00E4 079FC922
	v_cndmask_b32_e64 v32, v228, v230, s[78:79]                // 00000000A008: D1000020 013BCDE4
	v_lshrrev_b32_e32 v32, 16, v32                             // 00000000A010: 20404090
	v_cmp_u_f32_e64 s[78:79], v35, v35                         // 00000000A014: D048004E 00024723
	v_bfe_u32 v228, v35, 16, 1                                 // 00000000A01C: D1C800E4 02052123
	v_add3_u32 v228, v35, v228, v231                           // 00000000A024: D1FF00E4 079FC923
	v_cndmask_b32_e64 v33, v228, v230, s[78:79]                // 00000000A02C: D1000021 013BCDE4
	v_and_or_b32 v59, v33, v229, v32                           // 00000000A034: D201003B 0483CB21
	ds_write_b64 v27, v[52:53]                                 // 00000000A03C: D89A0000 0000341B
	ds_write_b64 v27, v[54:55] offset:544                      // 00000000A044: D89A0220 0000361B
	ds_write_b64 v27, v[56:57] offset:1088                     // 00000000A04C: D89A0440 0000381B
	ds_write_b64 v27, v[58:59] offset:1632                     // 00000000A054: D89A0660 00003A1B
	s_waitcnt lgkmcnt(0)                                       // 00000000A05C: BF8CC07F
	s_barrier                                                  // 00000000A060: BF8A0000
	ds_read_b64 v[52:53], v26                                  // 00000000A064: D8EC0000 3400001A
	ds_read_b64 v[54:55], v26 offset:128                       // 00000000A06C: D8EC0080 3600001A
	ds_read_b64 v[56:57], v26 offset:64                        // 00000000A074: D8EC0040 3800001A
	ds_read_b64 v[58:59], v26 offset:192                       // 00000000A07C: D8EC00C0 3A00001A
	s_waitcnt lgkmcnt(0)                                       // 00000000A084: BF8CC07F
	s_mov_b32 s70, s52                                         // 00000000A088: BEC60034
	buffer_store_dwordx4 v[52:55], v5, s[36:39], 0 idxen       // 00000000A08C: E07C2000 80093405
	s_mul_i32 s60, 2, s70                                      // 00000000A094: 923C4682
	v_add_u32_e32 v5, s60, v5                                  // 00000000A098: 680A0A3C
	buffer_store_dwordx4 v[56:59], v5, s[36:39], 0 idxen       // 00000000A09C: E07C2000 80093805
	s_mul_i32 s60, 2, s70                                      // 00000000A0A4: 923C4682
	v_add_u32_e32 v5, s60, v5                                  // 00000000A0A8: 680A0A3C
	s_mul_i32 s60, 12, s70                                     // 00000000A0AC: 923C468C
	v_add_u32_e32 v5, s60, v5                                  // 00000000A0B0: 680A0A3C
	s_barrier                                                  // 00000000A0B4: BF8A0000
	s_cmp_ge_i32 1, s72                                        // 00000000A0B8: BF034881
	s_cbranch_scc1 label_1A26                                  // 00000000A0BC: BF8501D2
	v_accvgpr_read_b32 v34, a128                               // 00000000A0C0: D3D84022 18000180
	v_accvgpr_read_b32 v35, a129                               // 00000000A0C8: D3D84023 18000181
	v_mul_f32_e32 v34, s47, v34                                // 00000000A0D0: 0A44442F
	v_mul_f32_e32 v35, s47, v35                                // 00000000A0D4: 0A46462F
	v_cmp_u_f32_e64 s[78:79], v34, v34                         // 00000000A0D8: D048004E 00024522
	v_bfe_u32 v228, v34, 16, 1                                 // 00000000A0E0: D1C800E4 02052122
	v_add3_u32 v228, v34, v228, v231                           // 00000000A0E8: D1FF00E4 079FC922
	v_cndmask_b32_e64 v32, v228, v230, s[78:79]                // 00000000A0F0: D1000020 013BCDE4
	v_lshrrev_b32_e32 v32, 16, v32                             // 00000000A0F8: 20404090
	v_cmp_u_f32_e64 s[78:79], v35, v35                         // 00000000A0FC: D048004E 00024723
	v_bfe_u32 v228, v35, 16, 1                                 // 00000000A104: D1C800E4 02052123
	v_add3_u32 v228, v35, v228, v231                           // 00000000A10C: D1FF00E4 079FC923
	v_cndmask_b32_e64 v33, v228, v230, s[78:79]                // 00000000A114: D1000021 013BCDE4
	v_and_or_b32 v60, v33, v229, v32                           // 00000000A11C: D201003C 0483CB21
	v_accvgpr_read_b32 v34, a130                               // 00000000A124: D3D84022 18000182
	v_accvgpr_read_b32 v35, a131                               // 00000000A12C: D3D84023 18000183
	v_mul_f32_e32 v34, s47, v34                                // 00000000A134: 0A44442F
	v_mul_f32_e32 v35, s47, v35                                // 00000000A138: 0A46462F
	v_cmp_u_f32_e64 s[78:79], v34, v34                         // 00000000A13C: D048004E 00024522
	v_bfe_u32 v228, v34, 16, 1                                 // 00000000A144: D1C800E4 02052122
	v_add3_u32 v228, v34, v228, v231                           // 00000000A14C: D1FF00E4 079FC922
	v_cndmask_b32_e64 v32, v228, v230, s[78:79]                // 00000000A154: D1000020 013BCDE4
	v_lshrrev_b32_e32 v32, 16, v32                             // 00000000A15C: 20404090
	v_cmp_u_f32_e64 s[78:79], v35, v35                         // 00000000A160: D048004E 00024723
	v_bfe_u32 v228, v35, 16, 1                                 // 00000000A168: D1C800E4 02052123
	v_add3_u32 v228, v35, v228, v231                           // 00000000A170: D1FF00E4 079FC923
	v_cndmask_b32_e64 v33, v228, v230, s[78:79]                // 00000000A178: D1000021 013BCDE4
	v_and_or_b32 v61, v33, v229, v32                           // 00000000A180: D201003D 0483CB21
	v_accvgpr_read_b32 v34, a132                               // 00000000A188: D3D84022 18000184
	v_accvgpr_read_b32 v35, a133                               // 00000000A190: D3D84023 18000185
	v_mul_f32_e32 v34, s47, v34                                // 00000000A198: 0A44442F
	v_mul_f32_e32 v35, s47, v35                                // 00000000A19C: 0A46462F
	v_cmp_u_f32_e64 s[78:79], v34, v34                         // 00000000A1A0: D048004E 00024522
	v_bfe_u32 v228, v34, 16, 1                                 // 00000000A1A8: D1C800E4 02052122
	v_add3_u32 v228, v34, v228, v231                           // 00000000A1B0: D1FF00E4 079FC922
	v_cndmask_b32_e64 v32, v228, v230, s[78:79]                // 00000000A1B8: D1000020 013BCDE4
	v_lshrrev_b32_e32 v32, 16, v32                             // 00000000A1C0: 20404090
	v_cmp_u_f32_e64 s[78:79], v35, v35                         // 00000000A1C4: D048004E 00024723
	v_bfe_u32 v228, v35, 16, 1                                 // 00000000A1CC: D1C800E4 02052123
	v_add3_u32 v228, v35, v228, v231                           // 00000000A1D4: D1FF00E4 079FC923
	v_cndmask_b32_e64 v33, v228, v230, s[78:79]                // 00000000A1DC: D1000021 013BCDE4
	v_and_or_b32 v62, v33, v229, v32                           // 00000000A1E4: D201003E 0483CB21
	v_accvgpr_read_b32 v34, a134                               // 00000000A1EC: D3D84022 18000186
	v_accvgpr_read_b32 v35, a135                               // 00000000A1F4: D3D84023 18000187
	v_mul_f32_e32 v34, s47, v34                                // 00000000A1FC: 0A44442F
	v_mul_f32_e32 v35, s47, v35                                // 00000000A200: 0A46462F
	v_cmp_u_f32_e64 s[78:79], v34, v34                         // 00000000A204: D048004E 00024522
	v_bfe_u32 v228, v34, 16, 1                                 // 00000000A20C: D1C800E4 02052122
	v_add3_u32 v228, v34, v228, v231                           // 00000000A214: D1FF00E4 079FC922
	v_cndmask_b32_e64 v32, v228, v230, s[78:79]                // 00000000A21C: D1000020 013BCDE4
	v_lshrrev_b32_e32 v32, 16, v32                             // 00000000A224: 20404090
	v_cmp_u_f32_e64 s[78:79], v35, v35                         // 00000000A228: D048004E 00024723
	v_bfe_u32 v228, v35, 16, 1                                 // 00000000A230: D1C800E4 02052123
	v_add3_u32 v228, v35, v228, v231                           // 00000000A238: D1FF00E4 079FC923
	v_cndmask_b32_e64 v33, v228, v230, s[78:79]                // 00000000A240: D1000021 013BCDE4
	v_and_or_b32 v63, v33, v229, v32                           // 00000000A248: D201003F 0483CB21
	v_accvgpr_read_b32 v34, a136                               // 00000000A250: D3D84022 18000188
	v_accvgpr_read_b32 v35, a137                               // 00000000A258: D3D84023 18000189
	v_mul_f32_e32 v34, s47, v34                                // 00000000A260: 0A44442F
	v_mul_f32_e32 v35, s47, v35                                // 00000000A264: 0A46462F
	v_cmp_u_f32_e64 s[78:79], v34, v34                         // 00000000A268: D048004E 00024522
	v_bfe_u32 v228, v34, 16, 1                                 // 00000000A270: D1C800E4 02052122
	v_add3_u32 v228, v34, v228, v231                           // 00000000A278: D1FF00E4 079FC922
	v_cndmask_b32_e64 v32, v228, v230, s[78:79]                // 00000000A280: D1000020 013BCDE4
	v_lshrrev_b32_e32 v32, 16, v32                             // 00000000A288: 20404090
	v_cmp_u_f32_e64 s[78:79], v35, v35                         // 00000000A28C: D048004E 00024723
	v_bfe_u32 v228, v35, 16, 1                                 // 00000000A294: D1C800E4 02052123
	v_add3_u32 v228, v35, v228, v231                           // 00000000A29C: D1FF00E4 079FC923
	v_cndmask_b32_e64 v33, v228, v230, s[78:79]                // 00000000A2A4: D1000021 013BCDE4
	v_and_or_b32 v64, v33, v229, v32                           // 00000000A2AC: D2010040 0483CB21
	v_accvgpr_read_b32 v34, a138                               // 00000000A2B4: D3D84022 1800018A
	v_accvgpr_read_b32 v35, a139                               // 00000000A2BC: D3D84023 1800018B
	v_mul_f32_e32 v34, s47, v34                                // 00000000A2C4: 0A44442F
	v_mul_f32_e32 v35, s47, v35                                // 00000000A2C8: 0A46462F
	v_cmp_u_f32_e64 s[78:79], v34, v34                         // 00000000A2CC: D048004E 00024522
	v_bfe_u32 v228, v34, 16, 1                                 // 00000000A2D4: D1C800E4 02052122
	v_add3_u32 v228, v34, v228, v231                           // 00000000A2DC: D1FF00E4 079FC922
	v_cndmask_b32_e64 v32, v228, v230, s[78:79]                // 00000000A2E4: D1000020 013BCDE4
	v_lshrrev_b32_e32 v32, 16, v32                             // 00000000A2EC: 20404090
	v_cmp_u_f32_e64 s[78:79], v35, v35                         // 00000000A2F0: D048004E 00024723
	v_bfe_u32 v228, v35, 16, 1                                 // 00000000A2F8: D1C800E4 02052123
	v_add3_u32 v228, v35, v228, v231                           // 00000000A300: D1FF00E4 079FC923
	v_cndmask_b32_e64 v33, v228, v230, s[78:79]                // 00000000A308: D1000021 013BCDE4
	v_and_or_b32 v65, v33, v229, v32                           // 00000000A310: D2010041 0483CB21
	v_accvgpr_read_b32 v34, a140                               // 00000000A318: D3D84022 1800018C
	v_accvgpr_read_b32 v35, a141                               // 00000000A320: D3D84023 1800018D
	v_mul_f32_e32 v34, s47, v34                                // 00000000A328: 0A44442F
	v_mul_f32_e32 v35, s47, v35                                // 00000000A32C: 0A46462F
	v_cmp_u_f32_e64 s[78:79], v34, v34                         // 00000000A330: D048004E 00024522
	v_bfe_u32 v228, v34, 16, 1                                 // 00000000A338: D1C800E4 02052122
	v_add3_u32 v228, v34, v228, v231                           // 00000000A340: D1FF00E4 079FC922
	v_cndmask_b32_e64 v32, v228, v230, s[78:79]                // 00000000A348: D1000020 013BCDE4
	v_lshrrev_b32_e32 v32, 16, v32                             // 00000000A350: 20404090
	v_cmp_u_f32_e64 s[78:79], v35, v35                         // 00000000A354: D048004E 00024723
	v_bfe_u32 v228, v35, 16, 1                                 // 00000000A35C: D1C800E4 02052123
	v_add3_u32 v228, v35, v228, v231                           // 00000000A364: D1FF00E4 079FC923
	v_cndmask_b32_e64 v33, v228, v230, s[78:79]                // 00000000A36C: D1000021 013BCDE4
	v_and_or_b32 v66, v33, v229, v32                           // 00000000A374: D2010042 0483CB21
	v_accvgpr_read_b32 v34, a142                               // 00000000A37C: D3D84022 1800018E
	v_accvgpr_read_b32 v35, a143                               // 00000000A384: D3D84023 1800018F
	v_mul_f32_e32 v34, s47, v34                                // 00000000A38C: 0A44442F
	v_mul_f32_e32 v35, s47, v35                                // 00000000A390: 0A46462F
	v_cmp_u_f32_e64 s[78:79], v34, v34                         // 00000000A394: D048004E 00024522
	v_bfe_u32 v228, v34, 16, 1                                 // 00000000A39C: D1C800E4 02052122
	v_add3_u32 v228, v34, v228, v231                           // 00000000A3A4: D1FF00E4 079FC922
	v_cndmask_b32_e64 v32, v228, v230, s[78:79]                // 00000000A3AC: D1000020 013BCDE4
	v_lshrrev_b32_e32 v32, 16, v32                             // 00000000A3B4: 20404090
	v_cmp_u_f32_e64 s[78:79], v35, v35                         // 00000000A3B8: D048004E 00024723
	v_bfe_u32 v228, v35, 16, 1                                 // 00000000A3C0: D1C800E4 02052123
	v_add3_u32 v228, v35, v228, v231                           // 00000000A3C8: D1FF00E4 079FC923
	v_cndmask_b32_e64 v33, v228, v230, s[78:79]                // 00000000A3D0: D1000021 013BCDE4
	v_and_or_b32 v67, v33, v229, v32                           // 00000000A3D8: D2010043 0483CB21
	ds_write_b64 v27, v[60:61] offset:8704                     // 00000000A3E0: D89A2200 00003C1B
	ds_write_b64 v27, v[62:63] offset:9248                     // 00000000A3E8: D89A2420 00003E1B
	ds_write_b64 v27, v[64:65] offset:9792                     // 00000000A3F0: D89A2640 0000401B
	ds_write_b64 v27, v[66:67] offset:10336                    // 00000000A3F8: D89A2860 0000421B
	s_waitcnt lgkmcnt(0)                                       // 00000000A400: BF8CC07F
	s_barrier                                                  // 00000000A404: BF8A0000
	ds_read_b64 v[60:61], v26 offset:8704                      // 00000000A408: D8EC2200 3C00001A
	ds_read_b64 v[62:63], v26 offset:8832                      // 00000000A410: D8EC2280 3E00001A
	ds_read_b64 v[64:65], v26 offset:8768                      // 00000000A418: D8EC2240 4000001A
	ds_read_b64 v[66:67], v26 offset:8896                      // 00000000A420: D8EC22C0 4200001A
	s_waitcnt lgkmcnt(0)                                       // 00000000A428: BF8CC07F
	s_mov_b32 s70, s52                                         // 00000000A42C: BEC60034
	buffer_store_dwordx4 v[60:63], v5, s[36:39], 0 idxen       // 00000000A430: E07C2000 80093C05
	s_mul_i32 s60, 2, s70                                      // 00000000A438: 923C4682
	v_add_u32_e32 v5, s60, v5                                  // 00000000A43C: 680A0A3C
	buffer_store_dwordx4 v[64:67], v5, s[36:39], 0 idxen       // 00000000A440: E07C2000 80094005
	s_mul_i32 s60, 2, s70                                      // 00000000A448: 923C4682
	v_add_u32_e32 v5, s60, v5                                  // 00000000A44C: 680A0A3C
	s_mul_i32 s60, 12, s70                                     // 00000000A450: 923C468C
	v_add_u32_e32 v5, s60, v5                                  // 00000000A454: 680A0A3C
	s_barrier                                                  // 00000000A458: BF8A0000
	s_cmp_ge_i32 2, s72                                        // 00000000A45C: BF034882
	s_cbranch_scc1 label_1A26                                  // 00000000A460: BF8500E9
	v_accvgpr_read_b32 v34, a144                               // 00000000A464: D3D84022 18000190
	v_accvgpr_read_b32 v35, a145                               // 00000000A46C: D3D84023 18000191
	v_mul_f32_e32 v34, s47, v34                                // 00000000A474: 0A44442F
	v_mul_f32_e32 v35, s47, v35                                // 00000000A478: 0A46462F
	v_cmp_u_f32_e64 s[78:79], v34, v34                         // 00000000A47C: D048004E 00024522
	v_bfe_u32 v228, v34, 16, 1                                 // 00000000A484: D1C800E4 02052122
	v_add3_u32 v228, v34, v228, v231                           // 00000000A48C: D1FF00E4 079FC922
	v_cndmask_b32_e64 v32, v228, v230, s[78:79]                // 00000000A494: D1000020 013BCDE4
	v_lshrrev_b32_e32 v32, 16, v32                             // 00000000A49C: 20404090
	v_cmp_u_f32_e64 s[78:79], v35, v35                         // 00000000A4A0: D048004E 00024723
	v_bfe_u32 v228, v35, 16, 1                                 // 00000000A4A8: D1C800E4 02052123
	v_add3_u32 v228, v35, v228, v231                           // 00000000A4B0: D1FF00E4 079FC923
	v_cndmask_b32_e64 v33, v228, v230, s[78:79]                // 00000000A4B8: D1000021 013BCDE4
	v_and_or_b32 v68, v33, v229, v32                           // 00000000A4C0: D2010044 0483CB21
	v_accvgpr_read_b32 v34, a146                               // 00000000A4C8: D3D84022 18000192
	v_accvgpr_read_b32 v35, a147                               // 00000000A4D0: D3D84023 18000193
	v_mul_f32_e32 v34, s47, v34                                // 00000000A4D8: 0A44442F
	v_mul_f32_e32 v35, s47, v35                                // 00000000A4DC: 0A46462F
	v_cmp_u_f32_e64 s[78:79], v34, v34                         // 00000000A4E0: D048004E 00024522
	v_bfe_u32 v228, v34, 16, 1                                 // 00000000A4E8: D1C800E4 02052122
	v_add3_u32 v228, v34, v228, v231                           // 00000000A4F0: D1FF00E4 079FC922
	v_cndmask_b32_e64 v32, v228, v230, s[78:79]                // 00000000A4F8: D1000020 013BCDE4
	v_lshrrev_b32_e32 v32, 16, v32                             // 00000000A500: 20404090
	v_cmp_u_f32_e64 s[78:79], v35, v35                         // 00000000A504: D048004E 00024723
	v_bfe_u32 v228, v35, 16, 1                                 // 00000000A50C: D1C800E4 02052123
	v_add3_u32 v228, v35, v228, v231                           // 00000000A514: D1FF00E4 079FC923
	v_cndmask_b32_e64 v33, v228, v230, s[78:79]                // 00000000A51C: D1000021 013BCDE4
	v_and_or_b32 v69, v33, v229, v32                           // 00000000A524: D2010045 0483CB21
	v_accvgpr_read_b32 v34, a148                               // 00000000A52C: D3D84022 18000194
	v_accvgpr_read_b32 v35, a149                               // 00000000A534: D3D84023 18000195
	v_mul_f32_e32 v34, s47, v34                                // 00000000A53C: 0A44442F
	v_mul_f32_e32 v35, s47, v35                                // 00000000A540: 0A46462F
	v_cmp_u_f32_e64 s[78:79], v34, v34                         // 00000000A544: D048004E 00024522
	v_bfe_u32 v228, v34, 16, 1                                 // 00000000A54C: D1C800E4 02052122
	v_add3_u32 v228, v34, v228, v231                           // 00000000A554: D1FF00E4 079FC922
	v_cndmask_b32_e64 v32, v228, v230, s[78:79]                // 00000000A55C: D1000020 013BCDE4
	v_lshrrev_b32_e32 v32, 16, v32                             // 00000000A564: 20404090
	v_cmp_u_f32_e64 s[78:79], v35, v35                         // 00000000A568: D048004E 00024723
	v_bfe_u32 v228, v35, 16, 1                                 // 00000000A570: D1C800E4 02052123
	v_add3_u32 v228, v35, v228, v231                           // 00000000A578: D1FF00E4 079FC923
	v_cndmask_b32_e64 v33, v228, v230, s[78:79]                // 00000000A580: D1000021 013BCDE4
	v_and_or_b32 v70, v33, v229, v32                           // 00000000A588: D2010046 0483CB21
	v_accvgpr_read_b32 v34, a150                               // 00000000A590: D3D84022 18000196
	v_accvgpr_read_b32 v35, a151                               // 00000000A598: D3D84023 18000197
	v_mul_f32_e32 v34, s47, v34                                // 00000000A5A0: 0A44442F
	v_mul_f32_e32 v35, s47, v35                                // 00000000A5A4: 0A46462F
	v_cmp_u_f32_e64 s[78:79], v34, v34                         // 00000000A5A8: D048004E 00024522
	v_bfe_u32 v228, v34, 16, 1                                 // 00000000A5B0: D1C800E4 02052122
	v_add3_u32 v228, v34, v228, v231                           // 00000000A5B8: D1FF00E4 079FC922
	v_cndmask_b32_e64 v32, v228, v230, s[78:79]                // 00000000A5C0: D1000020 013BCDE4
	v_lshrrev_b32_e32 v32, 16, v32                             // 00000000A5C8: 20404090
	v_cmp_u_f32_e64 s[78:79], v35, v35                         // 00000000A5CC: D048004E 00024723
	v_bfe_u32 v228, v35, 16, 1                                 // 00000000A5D4: D1C800E4 02052123
	v_add3_u32 v228, v35, v228, v231                           // 00000000A5DC: D1FF00E4 079FC923
	v_cndmask_b32_e64 v33, v228, v230, s[78:79]                // 00000000A5E4: D1000021 013BCDE4
	v_and_or_b32 v71, v33, v229, v32                           // 00000000A5EC: D2010047 0483CB21
	v_accvgpr_read_b32 v34, a152                               // 00000000A5F4: D3D84022 18000198
	v_accvgpr_read_b32 v35, a153                               // 00000000A5FC: D3D84023 18000199
	v_mul_f32_e32 v34, s47, v34                                // 00000000A604: 0A44442F
	v_mul_f32_e32 v35, s47, v35                                // 00000000A608: 0A46462F
	v_cmp_u_f32_e64 s[78:79], v34, v34                         // 00000000A60C: D048004E 00024522
	v_bfe_u32 v228, v34, 16, 1                                 // 00000000A614: D1C800E4 02052122
	v_add3_u32 v228, v34, v228, v231                           // 00000000A61C: D1FF00E4 079FC922
	v_cndmask_b32_e64 v32, v228, v230, s[78:79]                // 00000000A624: D1000020 013BCDE4
	v_lshrrev_b32_e32 v32, 16, v32                             // 00000000A62C: 20404090
	v_cmp_u_f32_e64 s[78:79], v35, v35                         // 00000000A630: D048004E 00024723
	v_bfe_u32 v228, v35, 16, 1                                 // 00000000A638: D1C800E4 02052123
	v_add3_u32 v228, v35, v228, v231                           // 00000000A640: D1FF00E4 079FC923
	v_cndmask_b32_e64 v33, v228, v230, s[78:79]                // 00000000A648: D1000021 013BCDE4
	v_and_or_b32 v72, v33, v229, v32                           // 00000000A650: D2010048 0483CB21
	v_accvgpr_read_b32 v34, a154                               // 00000000A658: D3D84022 1800019A
	v_accvgpr_read_b32 v35, a155                               // 00000000A660: D3D84023 1800019B
	v_mul_f32_e32 v34, s47, v34                                // 00000000A668: 0A44442F
	v_mul_f32_e32 v35, s47, v35                                // 00000000A66C: 0A46462F
	v_cmp_u_f32_e64 s[78:79], v34, v34                         // 00000000A670: D048004E 00024522
	v_bfe_u32 v228, v34, 16, 1                                 // 00000000A678: D1C800E4 02052122
	v_add3_u32 v228, v34, v228, v231                           // 00000000A680: D1FF00E4 079FC922
	v_cndmask_b32_e64 v32, v228, v230, s[78:79]                // 00000000A688: D1000020 013BCDE4
	v_lshrrev_b32_e32 v32, 16, v32                             // 00000000A690: 20404090
	v_cmp_u_f32_e64 s[78:79], v35, v35                         // 00000000A694: D048004E 00024723
	v_bfe_u32 v228, v35, 16, 1                                 // 00000000A69C: D1C800E4 02052123
	v_add3_u32 v228, v35, v228, v231                           // 00000000A6A4: D1FF00E4 079FC923
	v_cndmask_b32_e64 v33, v228, v230, s[78:79]                // 00000000A6AC: D1000021 013BCDE4
	v_and_or_b32 v73, v33, v229, v32                           // 00000000A6B4: D2010049 0483CB21
	v_accvgpr_read_b32 v34, a156                               // 00000000A6BC: D3D84022 1800019C
	v_accvgpr_read_b32 v35, a157                               // 00000000A6C4: D3D84023 1800019D
	v_mul_f32_e32 v34, s47, v34                                // 00000000A6CC: 0A44442F
	v_mul_f32_e32 v35, s47, v35                                // 00000000A6D0: 0A46462F
	v_cmp_u_f32_e64 s[78:79], v34, v34                         // 00000000A6D4: D048004E 00024522
	v_bfe_u32 v228, v34, 16, 1                                 // 00000000A6DC: D1C800E4 02052122
	v_add3_u32 v228, v34, v228, v231                           // 00000000A6E4: D1FF00E4 079FC922
	v_cndmask_b32_e64 v32, v228, v230, s[78:79]                // 00000000A6EC: D1000020 013BCDE4
	v_lshrrev_b32_e32 v32, 16, v32                             // 00000000A6F4: 20404090
	v_cmp_u_f32_e64 s[78:79], v35, v35                         // 00000000A6F8: D048004E 00024723
	v_bfe_u32 v228, v35, 16, 1                                 // 00000000A700: D1C800E4 02052123
	v_add3_u32 v228, v35, v228, v231                           // 00000000A708: D1FF00E4 079FC923
	v_cndmask_b32_e64 v33, v228, v230, s[78:79]                // 00000000A710: D1000021 013BCDE4
	v_and_or_b32 v74, v33, v229, v32                           // 00000000A718: D201004A 0483CB21
	v_accvgpr_read_b32 v34, a158                               // 00000000A720: D3D84022 1800019E
	v_accvgpr_read_b32 v35, a159                               // 00000000A728: D3D84023 1800019F
	v_mul_f32_e32 v34, s47, v34                                // 00000000A730: 0A44442F
	v_mul_f32_e32 v35, s47, v35                                // 00000000A734: 0A46462F
	v_cmp_u_f32_e64 s[78:79], v34, v34                         // 00000000A738: D048004E 00024522
	v_bfe_u32 v228, v34, 16, 1                                 // 00000000A740: D1C800E4 02052122
	v_add3_u32 v228, v34, v228, v231                           // 00000000A748: D1FF00E4 079FC922
	v_cndmask_b32_e64 v32, v228, v230, s[78:79]                // 00000000A750: D1000020 013BCDE4
	v_lshrrev_b32_e32 v32, 16, v32                             // 00000000A758: 20404090
	v_cmp_u_f32_e64 s[78:79], v35, v35                         // 00000000A75C: D048004E 00024723
	v_bfe_u32 v228, v35, 16, 1                                 // 00000000A764: D1C800E4 02052123
	v_add3_u32 v228, v35, v228, v231                           // 00000000A76C: D1FF00E4 079FC923
	v_cndmask_b32_e64 v33, v228, v230, s[78:79]                // 00000000A774: D1000021 013BCDE4
	v_and_or_b32 v75, v33, v229, v32                           // 00000000A77C: D201004B 0483CB21
	ds_write_b64 v27, v[68:69] offset:17408                    // 00000000A784: D89A4400 0000441B
	ds_write_b64 v27, v[70:71] offset:17952                    // 00000000A78C: D89A4620 0000461B
	ds_write_b64 v27, v[72:73] offset:18496                    // 00000000A794: D89A4840 0000481B
	ds_write_b64 v27, v[74:75] offset:19040                    // 00000000A79C: D89A4A60 00004A1B
	s_waitcnt lgkmcnt(0)                                       // 00000000A7A4: BF8CC07F
	s_barrier                                                  // 00000000A7A8: BF8A0000
	ds_read_b64 v[68:69], v26 offset:17408                     // 00000000A7AC: D8EC4400 4400001A
	ds_read_b64 v[70:71], v26 offset:17536                     // 00000000A7B4: D8EC4480 4600001A
	ds_read_b64 v[72:73], v26 offset:17472                     // 00000000A7BC: D8EC4440 4800001A
	ds_read_b64 v[74:75], v26 offset:17600                     // 00000000A7C4: D8EC44C0 4A00001A
	s_waitcnt lgkmcnt(0)                                       // 00000000A7CC: BF8CC07F
	s_mov_b32 s70, s52                                         // 00000000A7D0: BEC60034
	buffer_store_dwordx4 v[68:71], v5, s[36:39], 0 idxen       // 00000000A7D4: E07C2000 80094405
	s_mul_i32 s60, 2, s70                                      // 00000000A7DC: 923C4682
	v_add_u32_e32 v5, s60, v5                                  // 00000000A7E0: 680A0A3C
	buffer_store_dwordx4 v[72:75], v5, s[36:39], 0 idxen       // 00000000A7E4: E07C2000 80094805
	s_mul_i32 s60, 2, s70                                      // 00000000A7EC: 923C4682
	v_add_u32_e32 v5, s60, v5                                  // 00000000A7F0: 680A0A3C
	s_mul_i32 s60, 12, s70                                     // 00000000A7F4: 923C468C
	v_add_u32_e32 v5, s60, v5                                  // 00000000A7F8: 680A0A3C
	s_barrier                                                  // 00000000A7FC: BF8A0000
	s_cmp_ge_i32 3, s72                                        // 00000000A800: BF034883
	s_cbranch_scc1 label_1A26                                  // 00000000A804: BF850000

000000000000a808 <label_1A26>:
	v_mov_b32_e32 v34, v180                                    // 00000000A808: 7E4403B4
	v_mov_b32_e32 v35, v181                                    // 00000000A80C: 7E4603B5
	v_cmp_u_f32_e64 s[78:79], v34, v34                         // 00000000A810: D048004E 00024522
	v_bfe_u32 v228, v34, 16, 1                                 // 00000000A818: D1C800E4 02052122
	v_add3_u32 v228, v34, v228, v231                           // 00000000A820: D1FF00E4 079FC922
	v_cndmask_b32_e64 v32, v228, v230, s[78:79]                // 00000000A828: D1000020 013BCDE4
	v_lshrrev_b32_e32 v32, 16, v32                             // 00000000A830: 20404090
	v_cmp_u_f32_e64 s[78:79], v35, v35                         // 00000000A834: D048004E 00024723
	v_bfe_u32 v228, v35, 16, 1                                 // 00000000A83C: D1C800E4 02052123
	v_add3_u32 v228, v35, v228, v231                           // 00000000A844: D1FF00E4 079FC923
	v_cndmask_b32_e64 v33, v228, v230, s[78:79]                // 00000000A84C: D1000021 013BCDE4
	v_and_or_b32 v180, v33, v229, v32                          // 00000000A854: D20100B4 0483CB21
	v_mov_b32_e32 v34, v182                                    // 00000000A85C: 7E4403B6
	v_mov_b32_e32 v35, v183                                    // 00000000A860: 7E4603B7
	v_cmp_u_f32_e64 s[78:79], v34, v34                         // 00000000A864: D048004E 00024522
	v_bfe_u32 v228, v34, 16, 1                                 // 00000000A86C: D1C800E4 02052122
	v_add3_u32 v228, v34, v228, v231                           // 00000000A874: D1FF00E4 079FC922
	v_cndmask_b32_e64 v32, v228, v230, s[78:79]                // 00000000A87C: D1000020 013BCDE4
	v_lshrrev_b32_e32 v32, 16, v32                             // 00000000A884: 20404090
	v_cmp_u_f32_e64 s[78:79], v35, v35                         // 00000000A888: D048004E 00024723
	v_bfe_u32 v228, v35, 16, 1                                 // 00000000A890: D1C800E4 02052123
	v_add3_u32 v228, v35, v228, v231                           // 00000000A898: D1FF00E4 079FC923
	v_cndmask_b32_e64 v33, v228, v230, s[78:79]                // 00000000A8A0: D1000021 013BCDE4
	v_and_or_b32 v181, v33, v229, v32                          // 00000000A8A8: D20100B5 0483CB21
	v_mov_b32_e32 v34, v184                                    // 00000000A8B0: 7E4403B8
	v_mov_b32_e32 v35, v185                                    // 00000000A8B4: 7E4603B9
	v_cmp_u_f32_e64 s[78:79], v34, v34                         // 00000000A8B8: D048004E 00024522
	v_bfe_u32 v228, v34, 16, 1                                 // 00000000A8C0: D1C800E4 02052122
	v_add3_u32 v228, v34, v228, v231                           // 00000000A8C8: D1FF00E4 079FC922
	v_cndmask_b32_e64 v32, v228, v230, s[78:79]                // 00000000A8D0: D1000020 013BCDE4
	v_lshrrev_b32_e32 v32, 16, v32                             // 00000000A8D8: 20404090
	v_cmp_u_f32_e64 s[78:79], v35, v35                         // 00000000A8DC: D048004E 00024723
	v_bfe_u32 v228, v35, 16, 1                                 // 00000000A8E4: D1C800E4 02052123
	v_add3_u32 v228, v35, v228, v231                           // 00000000A8EC: D1FF00E4 079FC923
	v_cndmask_b32_e64 v33, v228, v230, s[78:79]                // 00000000A8F4: D1000021 013BCDE4
	v_and_or_b32 v182, v33, v229, v32                          // 00000000A8FC: D20100B6 0483CB21
	v_mov_b32_e32 v34, v186                                    // 00000000A904: 7E4403BA
	v_mov_b32_e32 v35, v187                                    // 00000000A908: 7E4603BB
	v_cmp_u_f32_e64 s[78:79], v34, v34                         // 00000000A90C: D048004E 00024522
	v_bfe_u32 v228, v34, 16, 1                                 // 00000000A914: D1C800E4 02052122
	v_add3_u32 v228, v34, v228, v231                           // 00000000A91C: D1FF00E4 079FC922
	v_cndmask_b32_e64 v32, v228, v230, s[78:79]                // 00000000A924: D1000020 013BCDE4
	v_lshrrev_b32_e32 v32, 16, v32                             // 00000000A92C: 20404090
	v_cmp_u_f32_e64 s[78:79], v35, v35                         // 00000000A930: D048004E 00024723
	v_bfe_u32 v228, v35, 16, 1                                 // 00000000A938: D1C800E4 02052123
	v_add3_u32 v228, v35, v228, v231                           // 00000000A940: D1FF00E4 079FC923
	v_cndmask_b32_e64 v33, v228, v230, s[78:79]                // 00000000A948: D1000021 013BCDE4
	v_and_or_b32 v183, v33, v229, v32                          // 00000000A950: D20100B7 0483CB21
	v_mov_b32_e32 v34, v188                                    // 00000000A958: 7E4403BC
	v_mov_b32_e32 v35, v189                                    // 00000000A95C: 7E4603BD
	v_cmp_u_f32_e64 s[78:79], v34, v34                         // 00000000A960: D048004E 00024522
	v_bfe_u32 v228, v34, 16, 1                                 // 00000000A968: D1C800E4 02052122
	v_add3_u32 v228, v34, v228, v231                           // 00000000A970: D1FF00E4 079FC922
	v_cndmask_b32_e64 v32, v228, v230, s[78:79]                // 00000000A978: D1000020 013BCDE4
	v_lshrrev_b32_e32 v32, 16, v32                             // 00000000A980: 20404090
	v_cmp_u_f32_e64 s[78:79], v35, v35                         // 00000000A984: D048004E 00024723
	v_bfe_u32 v228, v35, 16, 1                                 // 00000000A98C: D1C800E4 02052123
	v_add3_u32 v228, v35, v228, v231                           // 00000000A994: D1FF00E4 079FC923
	v_cndmask_b32_e64 v33, v228, v230, s[78:79]                // 00000000A99C: D1000021 013BCDE4
	v_and_or_b32 v184, v33, v229, v32                          // 00000000A9A4: D20100B8 0483CB21
	v_mov_b32_e32 v34, v190                                    // 00000000A9AC: 7E4403BE
	v_mov_b32_e32 v35, v191                                    // 00000000A9B0: 7E4603BF
	v_cmp_u_f32_e64 s[78:79], v34, v34                         // 00000000A9B4: D048004E 00024522
	v_bfe_u32 v228, v34, 16, 1                                 // 00000000A9BC: D1C800E4 02052122
	v_add3_u32 v228, v34, v228, v231                           // 00000000A9C4: D1FF00E4 079FC922
	v_cndmask_b32_e64 v32, v228, v230, s[78:79]                // 00000000A9CC: D1000020 013BCDE4
	v_lshrrev_b32_e32 v32, 16, v32                             // 00000000A9D4: 20404090
	v_cmp_u_f32_e64 s[78:79], v35, v35                         // 00000000A9D8: D048004E 00024723
	v_bfe_u32 v228, v35, 16, 1                                 // 00000000A9E0: D1C800E4 02052123
	v_add3_u32 v228, v35, v228, v231                           // 00000000A9E8: D1FF00E4 079FC923
	v_cndmask_b32_e64 v33, v228, v230, s[78:79]                // 00000000A9F0: D1000021 013BCDE4
	v_and_or_b32 v185, v33, v229, v32                          // 00000000A9F8: D20100B9 0483CB21
	v_mov_b32_e32 v34, v192                                    // 00000000AA00: 7E4403C0
	v_mov_b32_e32 v35, v193                                    // 00000000AA04: 7E4603C1
	v_cmp_u_f32_e64 s[78:79], v34, v34                         // 00000000AA08: D048004E 00024522
	v_bfe_u32 v228, v34, 16, 1                                 // 00000000AA10: D1C800E4 02052122
	v_add3_u32 v228, v34, v228, v231                           // 00000000AA18: D1FF00E4 079FC922
	v_cndmask_b32_e64 v32, v228, v230, s[78:79]                // 00000000AA20: D1000020 013BCDE4
	v_lshrrev_b32_e32 v32, 16, v32                             // 00000000AA28: 20404090
	v_cmp_u_f32_e64 s[78:79], v35, v35                         // 00000000AA2C: D048004E 00024723
	v_bfe_u32 v228, v35, 16, 1                                 // 00000000AA34: D1C800E4 02052123
	v_add3_u32 v228, v35, v228, v231                           // 00000000AA3C: D1FF00E4 079FC923
	v_cndmask_b32_e64 v33, v228, v230, s[78:79]                // 00000000AA44: D1000021 013BCDE4
	v_and_or_b32 v186, v33, v229, v32                          // 00000000AA4C: D20100BA 0483CB21
	v_mov_b32_e32 v34, v194                                    // 00000000AA54: 7E4403C2
	v_mov_b32_e32 v35, v195                                    // 00000000AA58: 7E4603C3
	v_cmp_u_f32_e64 s[78:79], v34, v34                         // 00000000AA5C: D048004E 00024522
	v_bfe_u32 v228, v34, 16, 1                                 // 00000000AA64: D1C800E4 02052122
	v_add3_u32 v228, v34, v228, v231                           // 00000000AA6C: D1FF00E4 079FC922
	v_cndmask_b32_e64 v32, v228, v230, s[78:79]                // 00000000AA74: D1000020 013BCDE4
	v_lshrrev_b32_e32 v32, 16, v32                             // 00000000AA7C: 20404090
	v_cmp_u_f32_e64 s[78:79], v35, v35                         // 00000000AA80: D048004E 00024723
	v_bfe_u32 v228, v35, 16, 1                                 // 00000000AA88: D1C800E4 02052123
	v_add3_u32 v228, v35, v228, v231                           // 00000000AA90: D1FF00E4 079FC923
	v_cndmask_b32_e64 v33, v228, v230, s[78:79]                // 00000000AA98: D1000021 013BCDE4
	v_and_or_b32 v187, v33, v229, v32                          // 00000000AAA0: D20100BB 0483CB21
	ds_write_b64 v27, v[180:181]                               // 00000000AAA8: D89A0000 0000B41B
	ds_write_b64 v27, v[182:183] offset:544                    // 00000000AAB0: D89A0220 0000B61B
	ds_write_b64 v27, v[184:185] offset:1088                   // 00000000AAB8: D89A0440 0000B81B
	ds_write_b64 v27, v[186:187] offset:1632                   // 00000000AAC0: D89A0660 0000BA1B
	s_waitcnt lgkmcnt(0)                                       // 00000000AAC8: BF8CC07F
	s_barrier                                                  // 00000000AACC: BF8A0000
	ds_read_b64 v[180:181], v26                                // 00000000AAD0: D8EC0000 B400001A
	ds_read_b64 v[182:183], v26 offset:128                     // 00000000AAD8: D8EC0080 B600001A
	ds_read_b64 v[184:185], v26 offset:64                      // 00000000AAE0: D8EC0040 B800001A
	ds_read_b64 v[186:187], v26 offset:192                     // 00000000AAE8: D8EC00C0 BA00001A
	s_waitcnt lgkmcnt(0)                                       // 00000000AAF0: BF8CC07F
	s_mov_b32 s70, s53                                         // 00000000AAF4: BEC60035
	buffer_store_dwordx4 v[180:183], v10, s[40:43], 0 idxen    // 00000000AAF8: E07C2000 800AB40A
	s_mul_i32 s60, 2, s70                                      // 00000000AB00: 923C4682
	v_add_u32_e32 v10, s60, v10                                // 00000000AB04: 6814143C
	buffer_store_dwordx4 v[184:187], v10, s[40:43], 0 idxen    // 00000000AB08: E07C2000 800AB80A
	s_mul_i32 s60, 2, s70                                      // 00000000AB10: 923C4682
	v_add_u32_e32 v10, s60, v10                                // 00000000AB14: 6814143C
	s_mul_i32 s60, 12, s70                                     // 00000000AB18: 923C468C
	v_add_u32_e32 v10, s60, v10                                // 00000000AB1C: 6814143C
	s_cmp_ge_i32 1, s72                                        // 00000000AB20: BF034881
	s_cbranch_scc1 label_1C7E                                  // 00000000AB24: BF850190
	v_mov_b32_e32 v34, v196                                    // 00000000AB28: 7E4403C4
	v_mov_b32_e32 v35, v197                                    // 00000000AB2C: 7E4603C5
	v_cmp_u_f32_e64 s[78:79], v34, v34                         // 00000000AB30: D048004E 00024522
	v_bfe_u32 v228, v34, 16, 1                                 // 00000000AB38: D1C800E4 02052122
	v_add3_u32 v228, v34, v228, v231                           // 00000000AB40: D1FF00E4 079FC922
	v_cndmask_b32_e64 v32, v228, v230, s[78:79]                // 00000000AB48: D1000020 013BCDE4
	v_lshrrev_b32_e32 v32, 16, v32                             // 00000000AB50: 20404090
	v_cmp_u_f32_e64 s[78:79], v35, v35                         // 00000000AB54: D048004E 00024723
	v_bfe_u32 v228, v35, 16, 1                                 // 00000000AB5C: D1C800E4 02052123
	v_add3_u32 v228, v35, v228, v231                           // 00000000AB64: D1FF00E4 079FC923
	v_cndmask_b32_e64 v33, v228, v230, s[78:79]                // 00000000AB6C: D1000021 013BCDE4
	v_and_or_b32 v188, v33, v229, v32                          // 00000000AB74: D20100BC 0483CB21
	v_mov_b32_e32 v34, v198                                    // 00000000AB7C: 7E4403C6
	v_mov_b32_e32 v35, v199                                    // 00000000AB80: 7E4603C7
	v_cmp_u_f32_e64 s[78:79], v34, v34                         // 00000000AB84: D048004E 00024522
	v_bfe_u32 v228, v34, 16, 1                                 // 00000000AB8C: D1C800E4 02052122
	v_add3_u32 v228, v34, v228, v231                           // 00000000AB94: D1FF00E4 079FC922
	v_cndmask_b32_e64 v32, v228, v230, s[78:79]                // 00000000AB9C: D1000020 013BCDE4
	v_lshrrev_b32_e32 v32, 16, v32                             // 00000000ABA4: 20404090
	v_cmp_u_f32_e64 s[78:79], v35, v35                         // 00000000ABA8: D048004E 00024723
	v_bfe_u32 v228, v35, 16, 1                                 // 00000000ABB0: D1C800E4 02052123
	v_add3_u32 v228, v35, v228, v231                           // 00000000ABB8: D1FF00E4 079FC923
	v_cndmask_b32_e64 v33, v228, v230, s[78:79]                // 00000000ABC0: D1000021 013BCDE4
	v_and_or_b32 v189, v33, v229, v32                          // 00000000ABC8: D20100BD 0483CB21
	v_mov_b32_e32 v34, v200                                    // 00000000ABD0: 7E4403C8
	v_mov_b32_e32 v35, v201                                    // 00000000ABD4: 7E4603C9
	v_cmp_u_f32_e64 s[78:79], v34, v34                         // 00000000ABD8: D048004E 00024522
	v_bfe_u32 v228, v34, 16, 1                                 // 00000000ABE0: D1C800E4 02052122
	v_add3_u32 v228, v34, v228, v231                           // 00000000ABE8: D1FF00E4 079FC922
	v_cndmask_b32_e64 v32, v228, v230, s[78:79]                // 00000000ABF0: D1000020 013BCDE4
	v_lshrrev_b32_e32 v32, 16, v32                             // 00000000ABF8: 20404090
	v_cmp_u_f32_e64 s[78:79], v35, v35                         // 00000000ABFC: D048004E 00024723
	v_bfe_u32 v228, v35, 16, 1                                 // 00000000AC04: D1C800E4 02052123
	v_add3_u32 v228, v35, v228, v231                           // 00000000AC0C: D1FF00E4 079FC923
	v_cndmask_b32_e64 v33, v228, v230, s[78:79]                // 00000000AC14: D1000021 013BCDE4
	v_and_or_b32 v190, v33, v229, v32                          // 00000000AC1C: D20100BE 0483CB21
	v_mov_b32_e32 v34, v202                                    // 00000000AC24: 7E4403CA
	v_mov_b32_e32 v35, v203                                    // 00000000AC28: 7E4603CB
	v_cmp_u_f32_e64 s[78:79], v34, v34                         // 00000000AC2C: D048004E 00024522
	v_bfe_u32 v228, v34, 16, 1                                 // 00000000AC34: D1C800E4 02052122
	v_add3_u32 v228, v34, v228, v231                           // 00000000AC3C: D1FF00E4 079FC922
	v_cndmask_b32_e64 v32, v228, v230, s[78:79]                // 00000000AC44: D1000020 013BCDE4
	v_lshrrev_b32_e32 v32, 16, v32                             // 00000000AC4C: 20404090
	v_cmp_u_f32_e64 s[78:79], v35, v35                         // 00000000AC50: D048004E 00024723
	v_bfe_u32 v228, v35, 16, 1                                 // 00000000AC58: D1C800E4 02052123
	v_add3_u32 v228, v35, v228, v231                           // 00000000AC60: D1FF00E4 079FC923
	v_cndmask_b32_e64 v33, v228, v230, s[78:79]                // 00000000AC68: D1000021 013BCDE4
	v_and_or_b32 v191, v33, v229, v32                          // 00000000AC70: D20100BF 0483CB21
	v_mov_b32_e32 v34, v204                                    // 00000000AC78: 7E4403CC
	v_mov_b32_e32 v35, v205                                    // 00000000AC7C: 7E4603CD
	v_cmp_u_f32_e64 s[78:79], v34, v34                         // 00000000AC80: D048004E 00024522
	v_bfe_u32 v228, v34, 16, 1                                 // 00000000AC88: D1C800E4 02052122
	v_add3_u32 v228, v34, v228, v231                           // 00000000AC90: D1FF00E4 079FC922
	v_cndmask_b32_e64 v32, v228, v230, s[78:79]                // 00000000AC98: D1000020 013BCDE4
	v_lshrrev_b32_e32 v32, 16, v32                             // 00000000ACA0: 20404090
	v_cmp_u_f32_e64 s[78:79], v35, v35                         // 00000000ACA4: D048004E 00024723
	v_bfe_u32 v228, v35, 16, 1                                 // 00000000ACAC: D1C800E4 02052123
	v_add3_u32 v228, v35, v228, v231                           // 00000000ACB4: D1FF00E4 079FC923
	v_cndmask_b32_e64 v33, v228, v230, s[78:79]                // 00000000ACBC: D1000021 013BCDE4
	v_and_or_b32 v192, v33, v229, v32                          // 00000000ACC4: D20100C0 0483CB21
	v_mov_b32_e32 v34, v206                                    // 00000000ACCC: 7E4403CE
	v_mov_b32_e32 v35, v207                                    // 00000000ACD0: 7E4603CF
	v_cmp_u_f32_e64 s[78:79], v34, v34                         // 00000000ACD4: D048004E 00024522
	v_bfe_u32 v228, v34, 16, 1                                 // 00000000ACDC: D1C800E4 02052122
	v_add3_u32 v228, v34, v228, v231                           // 00000000ACE4: D1FF00E4 079FC922
	v_cndmask_b32_e64 v32, v228, v230, s[78:79]                // 00000000ACEC: D1000020 013BCDE4
	v_lshrrev_b32_e32 v32, 16, v32                             // 00000000ACF4: 20404090
	v_cmp_u_f32_e64 s[78:79], v35, v35                         // 00000000ACF8: D048004E 00024723
	v_bfe_u32 v228, v35, 16, 1                                 // 00000000AD00: D1C800E4 02052123
	v_add3_u32 v228, v35, v228, v231                           // 00000000AD08: D1FF00E4 079FC923
	v_cndmask_b32_e64 v33, v228, v230, s[78:79]                // 00000000AD10: D1000021 013BCDE4
	v_and_or_b32 v193, v33, v229, v32                          // 00000000AD18: D20100C1 0483CB21
	v_mov_b32_e32 v34, v208                                    // 00000000AD20: 7E4403D0
	v_mov_b32_e32 v35, v209                                    // 00000000AD24: 7E4603D1
	v_cmp_u_f32_e64 s[78:79], v34, v34                         // 00000000AD28: D048004E 00024522
	v_bfe_u32 v228, v34, 16, 1                                 // 00000000AD30: D1C800E4 02052122
	v_add3_u32 v228, v34, v228, v231                           // 00000000AD38: D1FF00E4 079FC922
	v_cndmask_b32_e64 v32, v228, v230, s[78:79]                // 00000000AD40: D1000020 013BCDE4
	v_lshrrev_b32_e32 v32, 16, v32                             // 00000000AD48: 20404090
	v_cmp_u_f32_e64 s[78:79], v35, v35                         // 00000000AD4C: D048004E 00024723
	v_bfe_u32 v228, v35, 16, 1                                 // 00000000AD54: D1C800E4 02052123
	v_add3_u32 v228, v35, v228, v231                           // 00000000AD5C: D1FF00E4 079FC923
	v_cndmask_b32_e64 v33, v228, v230, s[78:79]                // 00000000AD64: D1000021 013BCDE4
	v_and_or_b32 v194, v33, v229, v32                          // 00000000AD6C: D20100C2 0483CB21
	v_mov_b32_e32 v34, v210                                    // 00000000AD74: 7E4403D2
	v_mov_b32_e32 v35, v211                                    // 00000000AD78: 7E4603D3
	v_cmp_u_f32_e64 s[78:79], v34, v34                         // 00000000AD7C: D048004E 00024522
	v_bfe_u32 v228, v34, 16, 1                                 // 00000000AD84: D1C800E4 02052122
	v_add3_u32 v228, v34, v228, v231                           // 00000000AD8C: D1FF00E4 079FC922
	v_cndmask_b32_e64 v32, v228, v230, s[78:79]                // 00000000AD94: D1000020 013BCDE4
	v_lshrrev_b32_e32 v32, 16, v32                             // 00000000AD9C: 20404090
	v_cmp_u_f32_e64 s[78:79], v35, v35                         // 00000000ADA0: D048004E 00024723
	v_bfe_u32 v228, v35, 16, 1                                 // 00000000ADA8: D1C800E4 02052123
	v_add3_u32 v228, v35, v228, v231                           // 00000000ADB0: D1FF00E4 079FC923
	v_cndmask_b32_e64 v33, v228, v230, s[78:79]                // 00000000ADB8: D1000021 013BCDE4
	v_and_or_b32 v195, v33, v229, v32                          // 00000000ADC0: D20100C3 0483CB21
	ds_write_b64 v27, v[188:189] offset:8704                   // 00000000ADC8: D89A2200 0000BC1B
	ds_write_b64 v27, v[190:191] offset:9248                   // 00000000ADD0: D89A2420 0000BE1B
	ds_write_b64 v27, v[192:193] offset:9792                   // 00000000ADD8: D89A2640 0000C01B
	ds_write_b64 v27, v[194:195] offset:10336                  // 00000000ADE0: D89A2860 0000C21B
	s_waitcnt lgkmcnt(0)                                       // 00000000ADE8: BF8CC07F
	s_barrier                                                  // 00000000ADEC: BF8A0000
	ds_read_b64 v[188:189], v26 offset:8704                    // 00000000ADF0: D8EC2200 BC00001A
	ds_read_b64 v[190:191], v26 offset:8832                    // 00000000ADF8: D8EC2280 BE00001A
	ds_read_b64 v[192:193], v26 offset:8768                    // 00000000AE00: D8EC2240 C000001A
	ds_read_b64 v[194:195], v26 offset:8896                    // 00000000AE08: D8EC22C0 C200001A
	s_waitcnt lgkmcnt(0)                                       // 00000000AE10: BF8CC07F
	s_mov_b32 s70, s53                                         // 00000000AE14: BEC60035
	buffer_store_dwordx4 v[188:191], v10, s[40:43], 0 idxen    // 00000000AE18: E07C2000 800ABC0A
	s_mul_i32 s60, 2, s70                                      // 00000000AE20: 923C4682
	v_add_u32_e32 v10, s60, v10                                // 00000000AE24: 6814143C
	buffer_store_dwordx4 v[192:195], v10, s[40:43], 0 idxen    // 00000000AE28: E07C2000 800AC00A
	s_mul_i32 s60, 2, s70                                      // 00000000AE30: 923C4682
	v_add_u32_e32 v10, s60, v10                                // 00000000AE34: 6814143C
	s_mul_i32 s60, 12, s70                                     // 00000000AE38: 923C468C
	v_add_u32_e32 v10, s60, v10                                // 00000000AE3C: 6814143C
	s_cmp_ge_i32 2, s72                                        // 00000000AE40: BF034882
	s_cbranch_scc1 label_1C7E                                  // 00000000AE44: BF8500C8
	v_mov_b32_e32 v34, v212                                    // 00000000AE48: 7E4403D4
	v_mov_b32_e32 v35, v213                                    // 00000000AE4C: 7E4603D5
	v_cmp_u_f32_e64 s[78:79], v34, v34                         // 00000000AE50: D048004E 00024522
	v_bfe_u32 v228, v34, 16, 1                                 // 00000000AE58: D1C800E4 02052122
	v_add3_u32 v228, v34, v228, v231                           // 00000000AE60: D1FF00E4 079FC922
	v_cndmask_b32_e64 v32, v228, v230, s[78:79]                // 00000000AE68: D1000020 013BCDE4
	v_lshrrev_b32_e32 v32, 16, v32                             // 00000000AE70: 20404090
	v_cmp_u_f32_e64 s[78:79], v35, v35                         // 00000000AE74: D048004E 00024723
	v_bfe_u32 v228, v35, 16, 1                                 // 00000000AE7C: D1C800E4 02052123
	v_add3_u32 v228, v35, v228, v231                           // 00000000AE84: D1FF00E4 079FC923
	v_cndmask_b32_e64 v33, v228, v230, s[78:79]                // 00000000AE8C: D1000021 013BCDE4
	v_and_or_b32 v196, v33, v229, v32                          // 00000000AE94: D20100C4 0483CB21
	v_mov_b32_e32 v34, v214                                    // 00000000AE9C: 7E4403D6
	v_mov_b32_e32 v35, v215                                    // 00000000AEA0: 7E4603D7
	v_cmp_u_f32_e64 s[78:79], v34, v34                         // 00000000AEA4: D048004E 00024522
	v_bfe_u32 v228, v34, 16, 1                                 // 00000000AEAC: D1C800E4 02052122
	v_add3_u32 v228, v34, v228, v231                           // 00000000AEB4: D1FF00E4 079FC922
	v_cndmask_b32_e64 v32, v228, v230, s[78:79]                // 00000000AEBC: D1000020 013BCDE4
	v_lshrrev_b32_e32 v32, 16, v32                             // 00000000AEC4: 20404090
	v_cmp_u_f32_e64 s[78:79], v35, v35                         // 00000000AEC8: D048004E 00024723
	v_bfe_u32 v228, v35, 16, 1                                 // 00000000AED0: D1C800E4 02052123
	v_add3_u32 v228, v35, v228, v231                           // 00000000AED8: D1FF00E4 079FC923
	v_cndmask_b32_e64 v33, v228, v230, s[78:79]                // 00000000AEE0: D1000021 013BCDE4
	v_and_or_b32 v197, v33, v229, v32                          // 00000000AEE8: D20100C5 0483CB21
	v_mov_b32_e32 v34, v216                                    // 00000000AEF0: 7E4403D8
	v_mov_b32_e32 v35, v217                                    // 00000000AEF4: 7E4603D9
	v_cmp_u_f32_e64 s[78:79], v34, v34                         // 00000000AEF8: D048004E 00024522
	v_bfe_u32 v228, v34, 16, 1                                 // 00000000AF00: D1C800E4 02052122
	v_add3_u32 v228, v34, v228, v231                           // 00000000AF08: D1FF00E4 079FC922
	v_cndmask_b32_e64 v32, v228, v230, s[78:79]                // 00000000AF10: D1000020 013BCDE4
	v_lshrrev_b32_e32 v32, 16, v32                             // 00000000AF18: 20404090
	v_cmp_u_f32_e64 s[78:79], v35, v35                         // 00000000AF1C: D048004E 00024723
	v_bfe_u32 v228, v35, 16, 1                                 // 00000000AF24: D1C800E4 02052123
	v_add3_u32 v228, v35, v228, v231                           // 00000000AF2C: D1FF00E4 079FC923
	v_cndmask_b32_e64 v33, v228, v230, s[78:79]                // 00000000AF34: D1000021 013BCDE4
	v_and_or_b32 v198, v33, v229, v32                          // 00000000AF3C: D20100C6 0483CB21
	v_mov_b32_e32 v34, v218                                    // 00000000AF44: 7E4403DA
	v_mov_b32_e32 v35, v219                                    // 00000000AF48: 7E4603DB
	v_cmp_u_f32_e64 s[78:79], v34, v34                         // 00000000AF4C: D048004E 00024522
	v_bfe_u32 v228, v34, 16, 1                                 // 00000000AF54: D1C800E4 02052122
	v_add3_u32 v228, v34, v228, v231                           // 00000000AF5C: D1FF00E4 079FC922
	v_cndmask_b32_e64 v32, v228, v230, s[78:79]                // 00000000AF64: D1000020 013BCDE4
	v_lshrrev_b32_e32 v32, 16, v32                             // 00000000AF6C: 20404090
	v_cmp_u_f32_e64 s[78:79], v35, v35                         // 00000000AF70: D048004E 00024723
	v_bfe_u32 v228, v35, 16, 1                                 // 00000000AF78: D1C800E4 02052123
	v_add3_u32 v228, v35, v228, v231                           // 00000000AF80: D1FF00E4 079FC923
	v_cndmask_b32_e64 v33, v228, v230, s[78:79]                // 00000000AF88: D1000021 013BCDE4
	v_and_or_b32 v199, v33, v229, v32                          // 00000000AF90: D20100C7 0483CB21
	v_mov_b32_e32 v34, v220                                    // 00000000AF98: 7E4403DC
	v_mov_b32_e32 v35, v221                                    // 00000000AF9C: 7E4603DD
	v_cmp_u_f32_e64 s[78:79], v34, v34                         // 00000000AFA0: D048004E 00024522
	v_bfe_u32 v228, v34, 16, 1                                 // 00000000AFA8: D1C800E4 02052122
	v_add3_u32 v228, v34, v228, v231                           // 00000000AFB0: D1FF00E4 079FC922
	v_cndmask_b32_e64 v32, v228, v230, s[78:79]                // 00000000AFB8: D1000020 013BCDE4
	v_lshrrev_b32_e32 v32, 16, v32                             // 00000000AFC0: 20404090
	v_cmp_u_f32_e64 s[78:79], v35, v35                         // 00000000AFC4: D048004E 00024723
	v_bfe_u32 v228, v35, 16, 1                                 // 00000000AFCC: D1C800E4 02052123
	v_add3_u32 v228, v35, v228, v231                           // 00000000AFD4: D1FF00E4 079FC923
	v_cndmask_b32_e64 v33, v228, v230, s[78:79]                // 00000000AFDC: D1000021 013BCDE4
	v_and_or_b32 v200, v33, v229, v32                          // 00000000AFE4: D20100C8 0483CB21
	v_mov_b32_e32 v34, v222                                    // 00000000AFEC: 7E4403DE
	v_mov_b32_e32 v35, v223                                    // 00000000AFF0: 7E4603DF
	v_cmp_u_f32_e64 s[78:79], v34, v34                         // 00000000AFF4: D048004E 00024522
	v_bfe_u32 v228, v34, 16, 1                                 // 00000000AFFC: D1C800E4 02052122
	v_add3_u32 v228, v34, v228, v231                           // 00000000B004: D1FF00E4 079FC922
	v_cndmask_b32_e64 v32, v228, v230, s[78:79]                // 00000000B00C: D1000020 013BCDE4
	v_lshrrev_b32_e32 v32, 16, v32                             // 00000000B014: 20404090
	v_cmp_u_f32_e64 s[78:79], v35, v35                         // 00000000B018: D048004E 00024723
	v_bfe_u32 v228, v35, 16, 1                                 // 00000000B020: D1C800E4 02052123
	v_add3_u32 v228, v35, v228, v231                           // 00000000B028: D1FF00E4 079FC923
	v_cndmask_b32_e64 v33, v228, v230, s[78:79]                // 00000000B030: D1000021 013BCDE4
	v_and_or_b32 v201, v33, v229, v32                          // 00000000B038: D20100C9 0483CB21
	v_mov_b32_e32 v34, v224                                    // 00000000B040: 7E4403E0
	v_mov_b32_e32 v35, v225                                    // 00000000B044: 7E4603E1
	v_cmp_u_f32_e64 s[78:79], v34, v34                         // 00000000B048: D048004E 00024522
	v_bfe_u32 v228, v34, 16, 1                                 // 00000000B050: D1C800E4 02052122
	v_add3_u32 v228, v34, v228, v231                           // 00000000B058: D1FF00E4 079FC922
	v_cndmask_b32_e64 v32, v228, v230, s[78:79]                // 00000000B060: D1000020 013BCDE4
	v_lshrrev_b32_e32 v32, 16, v32                             // 00000000B068: 20404090
	v_cmp_u_f32_e64 s[78:79], v35, v35                         // 00000000B06C: D048004E 00024723
	v_bfe_u32 v228, v35, 16, 1                                 // 00000000B074: D1C800E4 02052123
	v_add3_u32 v228, v35, v228, v231                           // 00000000B07C: D1FF00E4 079FC923
	v_cndmask_b32_e64 v33, v228, v230, s[78:79]                // 00000000B084: D1000021 013BCDE4
	v_and_or_b32 v202, v33, v229, v32                          // 00000000B08C: D20100CA 0483CB21
	v_mov_b32_e32 v34, v226                                    // 00000000B094: 7E4403E2
	v_mov_b32_e32 v35, v227                                    // 00000000B098: 7E4603E3
	v_cmp_u_f32_e64 s[78:79], v34, v34                         // 00000000B09C: D048004E 00024522
	v_bfe_u32 v228, v34, 16, 1                                 // 00000000B0A4: D1C800E4 02052122
	v_add3_u32 v228, v34, v228, v231                           // 00000000B0AC: D1FF00E4 079FC922
	v_cndmask_b32_e64 v32, v228, v230, s[78:79]                // 00000000B0B4: D1000020 013BCDE4
	v_lshrrev_b32_e32 v32, 16, v32                             // 00000000B0BC: 20404090
	v_cmp_u_f32_e64 s[78:79], v35, v35                         // 00000000B0C0: D048004E 00024723
	v_bfe_u32 v228, v35, 16, 1                                 // 00000000B0C8: D1C800E4 02052123
	v_add3_u32 v228, v35, v228, v231                           // 00000000B0D0: D1FF00E4 079FC923
	v_cndmask_b32_e64 v33, v228, v230, s[78:79]                // 00000000B0D8: D1000021 013BCDE4
	v_and_or_b32 v203, v33, v229, v32                          // 00000000B0E0: D20100CB 0483CB21
	ds_write_b64 v27, v[196:197] offset:17408                  // 00000000B0E8: D89A4400 0000C41B
	ds_write_b64 v27, v[198:199] offset:17952                  // 00000000B0F0: D89A4620 0000C61B
	ds_write_b64 v27, v[200:201] offset:18496                  // 00000000B0F8: D89A4840 0000C81B
	ds_write_b64 v27, v[202:203] offset:19040                  // 00000000B100: D89A4A60 0000CA1B
	s_waitcnt lgkmcnt(0)                                       // 00000000B108: BF8CC07F
	s_barrier                                                  // 00000000B10C: BF8A0000
	ds_read_b64 v[196:197], v26 offset:17408                   // 00000000B110: D8EC4400 C400001A
	ds_read_b64 v[198:199], v26 offset:17536                   // 00000000B118: D8EC4480 C600001A
	ds_read_b64 v[200:201], v26 offset:17472                   // 00000000B120: D8EC4440 C800001A
	ds_read_b64 v[202:203], v26 offset:17600                   // 00000000B128: D8EC44C0 CA00001A
	s_waitcnt lgkmcnt(0)                                       // 00000000B130: BF8CC07F
	s_mov_b32 s70, s53                                         // 00000000B134: BEC60035
	buffer_store_dwordx4 v[196:199], v10, s[40:43], 0 idxen    // 00000000B138: E07C2000 800AC40A
	s_mul_i32 s60, 2, s70                                      // 00000000B140: 923C4682
	v_add_u32_e32 v10, s60, v10                                // 00000000B144: 6814143C
	buffer_store_dwordx4 v[200:203], v10, s[40:43], 0 idxen    // 00000000B148: E07C2000 800AC80A
	s_mul_i32 s60, 2, s70                                      // 00000000B150: 923C4682
	v_add_u32_e32 v10, s60, v10                                // 00000000B154: 6814143C
	s_mul_i32 s60, 12, s70                                     // 00000000B158: 923C468C
	v_add_u32_e32 v10, s60, v10                                // 00000000B15C: 6814143C
	s_cmp_ge_i32 3, s72                                        // 00000000B160: BF034883
	s_cbranch_scc1 label_1C7E                                  // 00000000B164: BF850000

000000000000b168 <label_1C7E>:
	s_waitcnt vmcnt(0) expcnt(0) lgkmcnt(0)                    // 00000000B168: BF8C0000
	s_sub_i32 s60, s77, 1                                      // 00000000B16C: 81BC814D
	s_sub_i32 s2, s60, s2                                      // 00000000B170: 8182023C
	s_addk_i32 s75, 0x1                                        // 00000000B174: B74B0001
	s_cmp_lt_i32 s75, s76                                      // 00000000B178: BF044C4B
	s_cbranch_scc1 label_0151                                  // 00000000B17C: BF85E4F1
	s_endpgm                                                   // 00000000B180: BF810000
